;; amdgpu-corpus repo=ROCm/rocFFT kind=compiled arch=gfx906 opt=O3
	.text
	.amdgcn_target "amdgcn-amd-amdhsa--gfx906"
	.amdhsa_code_object_version 6
	.protected	bluestein_single_back_len320_dim1_half_op_CI_CI ; -- Begin function bluestein_single_back_len320_dim1_half_op_CI_CI
	.globl	bluestein_single_back_len320_dim1_half_op_CI_CI
	.p2align	8
	.type	bluestein_single_back_len320_dim1_half_op_CI_CI,@function
bluestein_single_back_len320_dim1_half_op_CI_CI: ; @bluestein_single_back_len320_dim1_half_op_CI_CI
; %bb.0:
	s_load_dwordx4 s[16:19], s[4:5], 0x28
	v_lshrrev_b32_e32 v1, 4, v0
	v_lshl_or_b32 v33, s6, 2, v1
	v_mov_b32_e32 v34, 0
	s_waitcnt lgkmcnt(0)
	v_cmp_gt_u64_e32 vcc, s[16:17], v[33:34]
	s_and_saveexec_b64 s[0:1], vcc
	s_cbranch_execz .LBB0_2
; %bb.1:
	s_load_dwordx4 s[8:11], s[4:5], 0x18
	s_load_dwordx4 s[0:3], s[4:5], 0x0
	v_and_b32_e32 v60, 15, v0
	v_mov_b32_e32 v9, s19
	v_lshlrev_b32_e32 v35, 2, v60
	s_waitcnt lgkmcnt(0)
	s_load_dwordx4 s[12:15], s[8:9], 0x0
	global_load_dword v61, v35, s[0:1]
	v_mul_u32_u24_e32 v36, 0x140, v1
	v_or_b32_e32 v1, v36, v60
	v_lshlrev_b32_e32 v43, 2, v1
	s_waitcnt lgkmcnt(0)
	v_mad_u64_u32 v[2:3], s[6:7], s14, v33, 0
	v_mad_u64_u32 v[4:5], s[6:7], s12, v60, 0
	v_lshl_or_b32 v38, v36, 2, v35
	v_mov_b32_e32 v49, 0xfffffbc0
	v_mad_u64_u32 v[6:7], s[6:7], s15, v33, v[3:4]
	v_add_u32_e32 v55, 0x400, v38
	v_or_b32_e32 v0, 48, v0
	v_mad_u64_u32 v[7:8], s[6:7], s13, v60, v[5:6]
	v_mov_b32_e32 v3, v6
	v_lshlrev_b64 v[2:3], 2, v[2:3]
	v_mov_b32_e32 v5, v7
	v_add_co_u32_e32 v6, vcc, s18, v2
	v_addc_co_u32_e32 v7, vcc, v9, v3, vcc
	v_lshlrev_b64 v[2:3], 2, v[4:5]
	s_add_u32 s6, s0, 0x500
	v_add_co_u32_e32 v2, vcc, v6, v2
	s_addc_u32 s7, s1, 0
	v_addc_co_u32_e32 v3, vcc, v7, v3, vcc
	s_lshl_b64 s[14:15], s[12:13], 7
	global_load_dword v4, v[2:3], off
	v_mov_b32_e32 v5, s15
	v_add_co_u32_e32 v2, vcc, s14, v2
	v_addc_co_u32_e32 v3, vcc, v3, v5, vcc
	global_load_dword v6, v[2:3], off
	global_load_dword v59, v35, s[0:1] offset:128
	v_add_co_u32_e32 v2, vcc, s14, v2
	v_addc_co_u32_e32 v3, vcc, v3, v5, vcc
	global_load_dword v7, v[2:3], off
	global_load_dword v58, v35, s[0:1] offset:256
	;; [unrolled: 4-line block ×5, first 2 shown]
	v_add_co_u32_e32 v1, vcc, s14, v2
	s_load_dwordx4 s[8:11], s[10:11], 0x0
	global_load_dword v51, v35, s[0:1] offset:768
	global_load_dword v44, v35, s[0:1] offset:448
	v_addc_co_u32_e32 v2, vcc, v3, v5, vcc
	global_load_dword v3, v[1:2], off
	global_load_dword v46, v35, s[0:1] offset:320
	global_load_dword v47, v35, s[0:1] offset:192
	;; [unrolled: 1-line block ×3, first 2 shown]
	v_add_co_u32_e32 v1, vcc, s14, v1
	v_addc_co_u32_e32 v2, vcc, v2, v5, vcc
	global_load_dword v11, v[1:2], off
	global_load_dword v53, v35, s[0:1] offset:896
	v_add_co_u32_e32 v1, vcc, s14, v1
	v_addc_co_u32_e32 v2, vcc, v2, v5, vcc
	s_mulk_i32 s13, 0xfbc0
	s_mov_b32 s15, 0xbb9c
	s_load_dwordx2 s[4:5], s[4:5], 0x38
	s_waitcnt vmcnt(18)
	v_lshrrev_b32_e32 v12, 16, v4
	v_mul_f16_sdwa v13, v61, v4 dst_sel:DWORD dst_unused:UNUSED_PAD src0_sel:WORD_1 src1_sel:DWORD
	v_mul_f16_sdwa v14, v61, v12 dst_sel:DWORD dst_unused:UNUSED_PAD src0_sel:WORD_1 src1_sel:DWORD
	v_fma_f16 v12, v61, v12, -v13
	v_fma_f16 v4, v61, v4, v14
	s_waitcnt vmcnt(17)
	v_lshrrev_b32_e32 v13, 16, v6
	s_waitcnt vmcnt(16)
	v_mul_f16_sdwa v15, v59, v6 dst_sel:DWORD dst_unused:UNUSED_PAD src0_sel:WORD_1 src1_sel:DWORD
	v_mul_f16_sdwa v14, v59, v13 dst_sel:DWORD dst_unused:UNUSED_PAD src0_sel:WORD_1 src1_sel:DWORD
	v_fma_f16 v13, v59, v13, -v15
	v_pack_b32_f16 v4, v4, v12
	s_waitcnt vmcnt(15)
	v_lshrrev_b32_e32 v15, 16, v7
	s_waitcnt vmcnt(14)
	v_mul_f16_sdwa v16, v58, v7 dst_sel:DWORD dst_unused:UNUSED_PAD src0_sel:WORD_1 src1_sel:DWORD
	v_fma_f16 v6, v59, v6, v14
	v_mul_f16_sdwa v12, v58, v15 dst_sel:DWORD dst_unused:UNUSED_PAD src0_sel:WORD_1 src1_sel:DWORD
	v_fma_f16 v14, v58, v15, -v16
	s_waitcnt vmcnt(13)
	v_lshrrev_b32_e32 v15, 16, v8
	s_waitcnt vmcnt(12)
	v_mul_f16_sdwa v16, v57, v8 dst_sel:DWORD dst_unused:UNUSED_PAD src0_sel:WORD_1 src1_sel:DWORD
	ds_write_b32 v43, v4
	v_pack_b32_f16 v4, v6, v13
	v_fma_f16 v6, v58, v7, v12
	v_mul_f16_sdwa v7, v57, v15 dst_sel:DWORD dst_unused:UNUSED_PAD src0_sel:WORD_1 src1_sel:DWORD
	v_fma_f16 v12, v57, v15, -v16
	ds_write_b32 v43, v4 offset:128
	v_pack_b32_f16 v4, v6, v14
	v_fma_f16 v6, v57, v8, v7
	ds_write_b32 v38, v4 offset:256
	v_pack_b32_f16 v4, v6, v12
	ds_write_b32 v38, v4 offset:384
	s_waitcnt vmcnt(11)
	v_lshrrev_b32_e32 v4, 16, v9
	s_waitcnt vmcnt(10)
	v_mul_f16_sdwa v6, v56, v4 dst_sel:DWORD dst_unused:UNUSED_PAD src0_sel:WORD_1 src1_sel:DWORD
	v_mul_f16_sdwa v7, v56, v9 dst_sel:DWORD dst_unused:UNUSED_PAD src0_sel:WORD_1 src1_sel:DWORD
	v_fma_f16 v6, v56, v9, v6
	v_fma_f16 v4, v56, v4, -v7
	v_pack_b32_f16 v4, v6, v4
	global_load_dword v39, v35, s[0:1] offset:960
	global_load_dword v41, v35, s[0:1] offset:832
	;; [unrolled: 1-line block ×4, first 2 shown]
	ds_write_b32 v38, v4 offset:512
	global_load_dword v7, v[1:2], off
	global_load_dword v52, v35, s[0:1] offset:1024
	v_add_co_u32_e32 v1, vcc, s14, v1
	v_addc_co_u32_e32 v2, vcc, v2, v5, vcc
	global_load_dword v8, v[1:2], off
	global_load_dword v50, v35, s[0:1] offset:1152
	v_mad_u64_u32 v[1:2], s[16:17], s12, v49, v[1:2]
	s_waitcnt vmcnt(17)
	v_lshrrev_b32_e32 v4, 16, v10
	s_sub_i32 s12, s13, s12
	s_waitcnt vmcnt(16)
	v_mul_f16_sdwa v6, v54, v4 dst_sel:DWORD dst_unused:UNUSED_PAD src0_sel:WORD_1 src1_sel:DWORD
	v_add_u32_e32 v2, s12, v2
	v_fma_f16 v6, v54, v10, v6
	v_mul_f16_sdwa v9, v54, v10 dst_sel:DWORD dst_unused:UNUSED_PAD src0_sel:WORD_1 src1_sel:DWORD
	global_load_dword v10, v[1:2], off
	v_add_co_u32_e32 v1, vcc, s14, v1
	v_fma_f16 v4, v54, v4, -v9
	v_addc_co_u32_e32 v2, vcc, v2, v5, vcc
	v_pack_b32_f16 v4, v6, v4
	global_load_dword v6, v[1:2], off
	v_add_co_u32_e32 v1, vcc, s14, v1
	v_addc_co_u32_e32 v2, vcc, v2, v5, vcc
	global_load_dword v9, v[1:2], off
	v_add_co_u32_e32 v1, vcc, s14, v1
	v_addc_co_u32_e32 v2, vcc, v2, v5, vcc
	global_load_dword v13, v[1:2], off
	v_add_co_u32_e32 v1, vcc, s14, v1
	ds_write_b32 v38, v4 offset:640
	s_waitcnt vmcnt(17)
	v_lshrrev_b32_e32 v4, 16, v3
	v_addc_co_u32_e32 v2, vcc, v2, v5, vcc
	v_mul_f16_sdwa v12, v51, v4 dst_sel:DWORD dst_unused:UNUSED_PAD src0_sel:WORD_1 src1_sel:DWORD
	global_load_dword v14, v[1:2], off
	v_fma_f16 v12, v51, v3, v12
	v_mul_f16_sdwa v3, v51, v3 dst_sel:DWORD dst_unused:UNUSED_PAD src0_sel:WORD_1 src1_sel:DWORD
	v_fma_f16 v3, v51, v4, -v3
	v_add_co_u32_e32 v1, vcc, s14, v1
	v_pack_b32_f16 v3, v12, v3
	v_addc_co_u32_e32 v2, vcc, v2, v5, vcc
	ds_write_b32 v38, v3 offset:768
	global_load_dword v3, v[1:2], off
	v_add_co_u32_e32 v1, vcc, s14, v1
	v_addc_co_u32_e32 v2, vcc, v2, v5, vcc
	global_load_dword v15, v[1:2], off
	v_add_co_u32_e32 v1, vcc, s14, v1
	v_addc_co_u32_e32 v2, vcc, v2, v5, vcc
	global_load_dword v16, v[1:2], off
	s_waitcnt vmcnt(17)
	v_lshrrev_b32_e32 v4, 16, v11
	s_waitcnt vmcnt(16)
	v_mul_f16_sdwa v12, v53, v4 dst_sel:DWORD dst_unused:UNUSED_PAD src0_sel:WORD_1 src1_sel:DWORD
	v_add_co_u32_e32 v1, vcc, s14, v1
	v_fma_f16 v12, v53, v11, v12
	v_mul_f16_sdwa v11, v53, v11 dst_sel:DWORD dst_unused:UNUSED_PAD src0_sel:WORD_1 src1_sel:DWORD
	v_addc_co_u32_e32 v2, vcc, v2, v5, vcc
	v_fma_f16 v4, v53, v4, -v11
	global_load_dword v11, v[1:2], off
	global_load_dword v37, v35, s[0:1] offset:1216
	global_load_dword v40, v35, s[0:1] offset:1088
	v_add_co_u32_e32 v1, vcc, s14, v1
	v_addc_co_u32_e32 v2, vcc, v2, v5, vcc
	global_load_dword v1, v[1:2], off
	v_pack_b32_f16 v4, v12, v4
	ds_write_b32 v38, v4 offset:896
	s_movk_i32 s13, 0x3b9c
	s_movk_i32 s12, 0x38b4
	s_waitcnt vmcnt(15)
	v_lshrrev_b32_e32 v2, 16, v7
	s_waitcnt vmcnt(14)
	v_mul_f16_sdwa v4, v52, v2 dst_sel:DWORD dst_unused:UNUSED_PAD src0_sel:WORD_1 src1_sel:DWORD
	v_mul_f16_sdwa v5, v52, v7 dst_sel:DWORD dst_unused:UNUSED_PAD src0_sel:WORD_1 src1_sel:DWORD
	v_fma_f16 v4, v52, v7, v4
	v_fma_f16 v2, v52, v2, -v5
	v_pack_b32_f16 v2, v4, v2
	ds_write_b32 v38, v2 offset:1024
	s_waitcnt vmcnt(13)
	v_lshrrev_b32_e32 v2, 16, v8
	s_waitcnt vmcnt(12)
	v_mul_f16_sdwa v4, v50, v2 dst_sel:DWORD dst_unused:UNUSED_PAD src0_sel:WORD_1 src1_sel:DWORD
	v_mul_f16_sdwa v5, v50, v8 dst_sel:DWORD dst_unused:UNUSED_PAD src0_sel:WORD_1 src1_sel:DWORD
	v_fma_f16 v4, v50, v8, v4
	v_fma_f16 v2, v50, v2, -v5
	v_pack_b32_f16 v2, v4, v2
	ds_write_b32 v38, v2 offset:1152
	s_mov_b32 s16, 0xb8b4
	s_waitcnt vmcnt(11)
	v_lshrrev_b32_e32 v2, 16, v10
	v_mul_f16_sdwa v5, v48, v2 dst_sel:DWORD dst_unused:UNUSED_PAD src0_sel:WORD_1 src1_sel:DWORD
	v_mul_f16_sdwa v7, v48, v10 dst_sel:DWORD dst_unused:UNUSED_PAD src0_sel:WORD_1 src1_sel:DWORD
	v_fma_f16 v5, v48, v10, v5
	v_fma_f16 v2, v48, v2, -v7
	v_pack_b32_f16 v2, v5, v2
	ds_write_b32 v43, v2 offset:64
	s_waitcnt vmcnt(10)
	v_lshrrev_b32_e32 v2, 16, v6
	v_mul_f16_sdwa v5, v47, v2 dst_sel:DWORD dst_unused:UNUSED_PAD src0_sel:WORD_1 src1_sel:DWORD
	v_fma_f16 v5, v47, v6, v5
	v_mul_f16_sdwa v6, v47, v6 dst_sel:DWORD dst_unused:UNUSED_PAD src0_sel:WORD_1 src1_sel:DWORD
	v_fma_f16 v2, v47, v2, -v6
	v_pack_b32_f16 v2, v5, v2
	ds_write_b32 v43, v2 offset:192
	s_waitcnt vmcnt(9)
	v_lshrrev_b32_e32 v2, 16, v9
	v_mul_f16_sdwa v5, v46, v2 dst_sel:DWORD dst_unused:UNUSED_PAD src0_sel:WORD_1 src1_sel:DWORD
	v_mul_f16_sdwa v6, v46, v9 dst_sel:DWORD dst_unused:UNUSED_PAD src0_sel:WORD_1 src1_sel:DWORD
	v_fma_f16 v5, v46, v9, v5
	v_fma_f16 v2, v46, v2, -v6
	v_pack_b32_f16 v2, v5, v2
	ds_write_b32 v38, v2 offset:320
	s_waitcnt vmcnt(8)
	v_lshrrev_b32_e32 v2, 16, v13
	v_mul_f16_sdwa v5, v44, v2 dst_sel:DWORD dst_unused:UNUSED_PAD src0_sel:WORD_1 src1_sel:DWORD
	v_mul_f16_sdwa v6, v44, v13 dst_sel:DWORD dst_unused:UNUSED_PAD src0_sel:WORD_1 src1_sel:DWORD
	v_fma_f16 v5, v44, v13, v5
	;; [unrolled: 8-line block ×3, first 2 shown]
	v_fma_f16 v2, v45, v2, -v6
	v_pack_b32_f16 v2, v5, v2
	ds_write_b32 v38, v2 offset:576
	s_waitcnt vmcnt(6)
	v_lshrrev_b32_e32 v2, 16, v3
	v_mul_f16_sdwa v5, v42, v2 dst_sel:DWORD dst_unused:UNUSED_PAD src0_sel:WORD_1 src1_sel:DWORD
	v_fma_f16 v5, v42, v3, v5
	v_mul_f16_sdwa v3, v42, v3 dst_sel:DWORD dst_unused:UNUSED_PAD src0_sel:WORD_1 src1_sel:DWORD
	v_fma_f16 v2, v42, v2, -v3
	v_pack_b32_f16 v2, v5, v2
	ds_write_b32 v38, v2 offset:704
	s_waitcnt vmcnt(5)
	v_lshrrev_b32_e32 v2, 16, v15
	v_mul_f16_sdwa v3, v41, v2 dst_sel:DWORD dst_unused:UNUSED_PAD src0_sel:WORD_1 src1_sel:DWORD
	v_mul_f16_sdwa v5, v41, v15 dst_sel:DWORD dst_unused:UNUSED_PAD src0_sel:WORD_1 src1_sel:DWORD
	v_fma_f16 v3, v41, v15, v3
	v_fma_f16 v2, v41, v2, -v5
	v_pack_b32_f16 v2, v3, v2
	ds_write_b32 v38, v2 offset:832
	s_waitcnt vmcnt(4)
	v_lshrrev_b32_e32 v2, 16, v16
	v_mul_f16_sdwa v3, v39, v2 dst_sel:DWORD dst_unused:UNUSED_PAD src0_sel:WORD_1 src1_sel:DWORD
	v_mul_f16_sdwa v5, v39, v16 dst_sel:DWORD dst_unused:UNUSED_PAD src0_sel:WORD_1 src1_sel:DWORD
	v_fma_f16 v3, v39, v16, v3
	v_fma_f16 v2, v39, v2, -v5
	v_pack_b32_f16 v2, v3, v2
	ds_write_b32 v38, v2 offset:960
	s_waitcnt vmcnt(3)
	v_lshrrev_b32_e32 v2, 16, v11
	s_waitcnt vmcnt(1)
	v_mul_f16_sdwa v3, v40, v2 dst_sel:DWORD dst_unused:UNUSED_PAD src0_sel:WORD_1 src1_sel:DWORD
	v_mul_f16_sdwa v5, v40, v11 dst_sel:DWORD dst_unused:UNUSED_PAD src0_sel:WORD_1 src1_sel:DWORD
	v_fma_f16 v3, v40, v11, v3
	v_fma_f16 v2, v40, v2, -v5
	v_pack_b32_f16 v2, v3, v2
	ds_write_b32 v38, v2 offset:1088
	s_waitcnt vmcnt(0)
	v_lshrrev_b32_e32 v2, 16, v1
	v_mul_f16_sdwa v3, v37, v2 dst_sel:DWORD dst_unused:UNUSED_PAD src0_sel:WORD_1 src1_sel:DWORD
	v_fma_f16 v3, v37, v1, v3
	v_mul_f16_sdwa v1, v37, v1 dst_sel:DWORD dst_unused:UNUSED_PAD src0_sel:WORD_1 src1_sel:DWORD
	v_fma_f16 v1, v37, v2, -v1
	v_pack_b32_f16 v1, v3, v1
	ds_write_b32 v38, v1 offset:1216
	v_mul_u32_u24_e32 v1, 10, v60
	s_waitcnt lgkmcnt(0)
	; wave barrier
	s_waitcnt lgkmcnt(0)
	v_add_lshl_u32 v64, v36, v1, 2
	ds_read2_b32 v[1:2], v43 offset1:16
	ds_read2_b32 v[5:6], v43 offset0:32 offset1:48
	ds_read2_b32 v[7:8], v38 offset0:64 offset1:80
	;; [unrolled: 1-line block ×6, first 2 shown]
	ds_read2_b32 v[17:18], v55 offset1:16
	ds_read2_b32 v[19:20], v38 offset0:224 offset1:240
	ds_read2_b32 v[21:22], v55 offset0:32 offset1:48
	s_movk_i32 s14, 0x34f2
	s_waitcnt lgkmcnt(5)
	v_sub_f16_e32 v27, v7, v11
	s_waitcnt lgkmcnt(2)
	v_sub_f16_sdwa v23, v7, v17 dst_sel:DWORD dst_unused:UNUSED_PAD src0_sel:WORD_1 src1_sel:WORD_1
	v_add_f16_e32 v3, v11, v15
	v_fma_f16 v3, v3, -0.5, v1
	v_fma_f16 v24, v23, s13, v3
	v_sub_f16_sdwa v25, v11, v15 dst_sel:DWORD dst_unused:UNUSED_PAD src0_sel:WORD_1 src1_sel:WORD_1
	v_sub_f16_e32 v26, v17, v15
	v_fma_f16 v3, v23, s15, v3
	v_fma_f16 v24, v25, s12, v24
	v_add_f16_e32 v26, v27, v26
	v_fma_f16 v3, v25, s16, v3
	v_fma_f16 v24, v26, s14, v24
	;; [unrolled: 1-line block ×3, first 2 shown]
	v_add_f16_e32 v26, v7, v17
	v_fma_f16 v26, v26, -0.5, v1
	v_fma_f16 v27, v25, s15, v26
	v_sub_f16_e32 v28, v15, v17
	v_sub_f16_e32 v29, v11, v7
	v_fma_f16 v25, v25, s13, v26
	v_fma_f16 v27, v23, s12, v27
	v_add_f16_e32 v28, v29, v28
	v_fma_f16 v23, v23, s16, v25
	v_pk_add_f16 v25, v1, v7
	v_add_f16_sdwa v26, v11, v15 dst_sel:DWORD dst_unused:UNUSED_PAD src0_sel:WORD_1 src1_sel:WORD_1
	v_lshrrev_b32_e32 v1, 16, v1
	v_fma_f16 v27, v28, s14, v27
	v_fma_f16 v23, v28, s14, v23
	v_fma_f16 v26, v26, -0.5, v1
	v_sub_f16_e32 v28, v7, v17
	v_fma_f16 v29, v28, s15, v26
	v_sub_f16_e32 v30, v11, v15
	v_sub_f16_sdwa v31, v7, v11 dst_sel:DWORD dst_unused:UNUSED_PAD src0_sel:WORD_1 src1_sel:WORD_1
	v_sub_f16_sdwa v32, v17, v15 dst_sel:DWORD dst_unused:UNUSED_PAD src0_sel:WORD_1 src1_sel:WORD_1
	v_fma_f16 v26, v28, s13, v26
	v_fma_f16 v29, v30, s16, v29
	v_add_f16_e32 v31, v31, v32
	v_fma_f16 v26, v30, s12, v26
	v_fma_f16 v29, v31, s14, v29
	;; [unrolled: 1-line block ×3, first 2 shown]
	v_add_f16_sdwa v31, v7, v17 dst_sel:DWORD dst_unused:UNUSED_PAD src0_sel:WORD_1 src1_sel:WORD_1
	v_fma_f16 v1, v31, -0.5, v1
	v_pk_add_f16 v25, v25, v11
	v_fma_f16 v31, v30, s13, v1
	v_sub_f16_sdwa v7, v11, v7 dst_sel:DWORD dst_unused:UNUSED_PAD src0_sel:WORD_1 src1_sel:WORD_1
	v_sub_f16_sdwa v11, v15, v17 dst_sel:DWORD dst_unused:UNUSED_PAD src0_sel:WORD_1 src1_sel:WORD_1
	v_fma_f16 v1, v30, s15, v1
	v_fma_f16 v31, v28, s16, v31
	v_add_f16_e32 v7, v7, v11
	v_fma_f16 v1, v28, s12, v1
	v_fma_f16 v11, v7, s14, v31
	;; [unrolled: 1-line block ×3, first 2 shown]
	s_waitcnt lgkmcnt(1)
	v_add_f16_e32 v7, v13, v19
	v_pk_add_f16 v25, v25, v15
	v_fma_f16 v7, v7, -0.5, v5
	s_waitcnt lgkmcnt(0)
	v_sub_f16_sdwa v15, v9, v21 dst_sel:DWORD dst_unused:UNUSED_PAD src0_sel:WORD_1 src1_sel:WORD_1
	v_pk_add_f16 v25, v25, v17
	v_fma_f16 v17, v15, s13, v7
	v_sub_f16_sdwa v28, v13, v19 dst_sel:DWORD dst_unused:UNUSED_PAD src0_sel:WORD_1 src1_sel:WORD_1
	v_sub_f16_e32 v30, v21, v19
	v_sub_f16_e32 v31, v9, v13
	v_fma_f16 v7, v15, s15, v7
	v_fma_f16 v17, v28, s12, v17
	v_add_f16_e32 v30, v31, v30
	v_fma_f16 v7, v28, s16, v7
	v_fma_f16 v17, v30, s14, v17
	v_fma_f16 v7, v30, s14, v7
	v_add_f16_e32 v30, v9, v21
	v_fma_f16 v30, v30, -0.5, v5
	v_fma_f16 v31, v28, s15, v30
	v_sub_f16_e32 v32, v19, v21
	v_sub_f16_e32 v62, v13, v9
	v_fma_f16 v28, v28, s13, v30
	v_fma_f16 v31, v15, s12, v31
	v_add_f16_e32 v32, v62, v32
	v_fma_f16 v15, v15, s16, v28
	v_pk_add_f16 v28, v5, v9
	v_add_f16_sdwa v30, v13, v19 dst_sel:DWORD dst_unused:UNUSED_PAD src0_sel:WORD_1 src1_sel:WORD_1
	v_lshrrev_b32_e32 v5, 16, v5
	v_fma_f16 v31, v32, s14, v31
	v_fma_f16 v15, v32, s14, v15
	v_fma_f16 v30, v30, -0.5, v5
	v_sub_f16_e32 v32, v9, v21
	v_fma_f16 v62, v32, s15, v30
	v_sub_f16_e32 v63, v13, v19
	v_sub_f16_sdwa v65, v9, v13 dst_sel:DWORD dst_unused:UNUSED_PAD src0_sel:WORD_1 src1_sel:WORD_1
	v_sub_f16_sdwa v66, v21, v19 dst_sel:DWORD dst_unused:UNUSED_PAD src0_sel:WORD_1 src1_sel:WORD_1
	v_fma_f16 v30, v32, s13, v30
	v_fma_f16 v62, v63, s16, v62
	v_add_f16_e32 v65, v65, v66
	v_fma_f16 v30, v63, s12, v30
	v_fma_f16 v62, v65, s14, v62
	;; [unrolled: 1-line block ×3, first 2 shown]
	v_add_f16_sdwa v65, v9, v21 dst_sel:DWORD dst_unused:UNUSED_PAD src0_sel:WORD_1 src1_sel:WORD_1
	v_fma_f16 v5, v65, -0.5, v5
	v_pk_add_f16 v28, v28, v13
	v_fma_f16 v65, v63, s13, v5
	v_sub_f16_sdwa v9, v13, v9 dst_sel:DWORD dst_unused:UNUSED_PAD src0_sel:WORD_1 src1_sel:WORD_1
	v_sub_f16_sdwa v13, v19, v21 dst_sel:DWORD dst_unused:UNUSED_PAD src0_sel:WORD_1 src1_sel:WORD_1
	v_fma_f16 v65, v32, s16, v65
	v_add_f16_e32 v9, v9, v13
	v_fma_f16 v5, v63, s15, v5
	v_pk_add_f16 v28, v28, v19
	v_fma_f16 v13, v9, s14, v65
	v_fma_f16 v5, v32, s12, v5
	v_pk_add_f16 v28, v28, v21
	v_fma_f16 v5, v9, s14, v5
	v_mul_f16_e32 v21, 0x3b9c, v13
	v_mul_f16_e32 v63, 0xb4f2, v15
	v_fma_f16 v21, v31, s14, v21
	v_fma_f16 v63, v5, s13, v63
	v_mul_f16_e32 v31, 0xbb9c, v31
	v_mul_f16_e32 v5, 0xb4f2, v5
	;; [unrolled: 1-line block ×4, first 2 shown]
	v_fma_f16 v13, v13, s14, v31
	v_fma_f16 v5, v15, s15, v5
	s_movk_i32 s17, 0x3a79
	v_fma_f16 v9, v62, s12, v9
	v_fma_f16 v65, v30, s12, v65
	v_mul_f16_e32 v17, 0xb8b4, v17
	v_add_f16_e32 v31, v11, v13
	v_add_f16_e32 v15, v1, v5
	v_mul_f16_e32 v30, 0xba79, v30
	v_sub_f16_e32 v11, v11, v13
	v_sub_f16_e32 v13, v1, v5
	v_add_f16_e32 v1, v12, v16
	v_add_f16_e32 v19, v24, v9
	;; [unrolled: 1-line block ×3, first 2 shown]
	v_fma_f16 v17, v62, s17, v17
	v_fma_f16 v7, v7, s16, v30
	v_sub_f16_e32 v9, v24, v9
	v_sub_f16_e32 v24, v3, v65
	v_fma_f16 v1, v1, -0.5, v2
	v_sub_f16_sdwa v3, v8, v18 dst_sel:DWORD dst_unused:UNUSED_PAD src0_sel:WORD_1 src1_sel:WORD_1
	v_add_f16_e32 v32, v27, v21
	v_add_f16_e32 v62, v29, v17
	;; [unrolled: 1-line block ×3, first 2 shown]
	v_sub_f16_e32 v21, v27, v21
	v_sub_f16_e32 v17, v29, v17
	;; [unrolled: 1-line block ×3, first 2 shown]
	v_fma_f16 v5, v3, s13, v1
	v_sub_f16_sdwa v7, v12, v16 dst_sel:DWORD dst_unused:UNUSED_PAD src0_sel:WORD_1 src1_sel:WORD_1
	v_sub_f16_e32 v27, v18, v16
	v_sub_f16_e32 v29, v8, v12
	v_fma_f16 v1, v3, s15, v1
	v_fma_f16 v5, v7, s12, v5
	v_add_f16_e32 v27, v29, v27
	v_fma_f16 v1, v7, s16, v1
	v_fma_f16 v29, v27, s14, v5
	;; [unrolled: 1-line block ×3, first 2 shown]
	v_add_f16_e32 v1, v8, v18
	v_fma_f16 v1, v1, -0.5, v2
	v_add_f16_e32 v66, v23, v63
	v_sub_f16_e32 v23, v23, v63
	v_fma_f16 v5, v7, s15, v1
	v_sub_f16_e32 v63, v16, v18
	v_sub_f16_e32 v65, v12, v8
	v_fma_f16 v1, v7, s13, v1
	v_fma_f16 v5, v3, s12, v5
	v_add_f16_e32 v63, v65, v63
	v_fma_f16 v1, v3, s16, v1
	v_fma_f16 v68, v63, s14, v5
	;; [unrolled: 1-line block ×3, first 2 shown]
	v_pk_add_f16 v5, v2, v8
	v_add_f16_sdwa v1, v12, v16 dst_sel:DWORD dst_unused:UNUSED_PAD src0_sel:WORD_1 src1_sel:WORD_1
	v_lshrrev_b32_e32 v2, 16, v2
	v_fma_f16 v1, v1, -0.5, v2
	v_sub_f16_e32 v63, v8, v18
	v_fma_f16 v3, v63, s15, v1
	v_sub_f16_e32 v65, v12, v16
	v_sub_f16_sdwa v69, v8, v12 dst_sel:DWORD dst_unused:UNUSED_PAD src0_sel:WORD_1 src1_sel:WORD_1
	v_sub_f16_sdwa v70, v18, v16 dst_sel:DWORD dst_unused:UNUSED_PAD src0_sel:WORD_1 src1_sel:WORD_1
	v_fma_f16 v1, v63, s13, v1
	v_fma_f16 v3, v65, s16, v3
	v_add_f16_e32 v69, v69, v70
	v_fma_f16 v1, v65, s12, v1
	v_fma_f16 v70, v69, s14, v3
	;; [unrolled: 1-line block ×3, first 2 shown]
	v_add_f16_sdwa v1, v8, v18 dst_sel:DWORD dst_unused:UNUSED_PAD src0_sel:WORD_1 src1_sel:WORD_1
	v_pk_add_f16 v5, v5, v12
	v_fma_f16 v2, v1, -0.5, v2
	v_pk_add_f16 v5, v5, v16
	v_pk_add_f16 v1, v25, v28
	v_pk_add_f16 v3, v25, v28 neg_lo:[0,1] neg_hi:[0,1]
	v_pk_add_f16 v25, v5, v18
	v_sub_f16_sdwa v5, v12, v8 dst_sel:DWORD dst_unused:UNUSED_PAD src0_sel:WORD_1 src1_sel:WORD_1
	v_fma_f16 v8, v65, s13, v2
	v_sub_f16_sdwa v12, v16, v18 dst_sel:DWORD dst_unused:UNUSED_PAD src0_sel:WORD_1 src1_sel:WORD_1
	v_fma_f16 v2, v65, s15, v2
	v_fma_f16 v8, v63, s16, v8
	v_add_f16_e32 v5, v5, v12
	v_fma_f16 v2, v63, s12, v2
	v_fma_f16 v8, v5, s14, v8
	;; [unrolled: 1-line block ×3, first 2 shown]
	v_add_f16_e32 v5, v14, v20
	v_fma_f16 v5, v5, -0.5, v6
	v_sub_f16_sdwa v12, v10, v22 dst_sel:DWORD dst_unused:UNUSED_PAD src0_sel:WORD_1 src1_sel:WORD_1
	v_fma_f16 v16, v12, s13, v5
	v_sub_f16_sdwa v18, v14, v20 dst_sel:DWORD dst_unused:UNUSED_PAD src0_sel:WORD_1 src1_sel:WORD_1
	v_sub_f16_e32 v28, v22, v20
	v_sub_f16_e32 v63, v10, v14
	v_fma_f16 v5, v12, s15, v5
	v_fma_f16 v16, v18, s12, v16
	v_add_f16_e32 v28, v63, v28
	v_fma_f16 v5, v18, s16, v5
	v_fma_f16 v16, v28, s14, v16
	v_fma_f16 v28, v28, s14, v5
	v_add_f16_e32 v5, v10, v22
	v_fma_f16 v5, v5, -0.5, v6
	v_fma_f16 v63, v18, s15, v5
	v_sub_f16_e32 v65, v20, v22
	v_sub_f16_e32 v71, v14, v10
	v_fma_f16 v5, v18, s13, v5
	v_add_f16_e32 v65, v71, v65
	v_fma_f16 v5, v12, s16, v5
	v_fma_f16 v63, v12, s12, v63
	;; [unrolled: 1-line block ×3, first 2 shown]
	v_pk_add_f16 v5, v6, v10
	v_add_f16_sdwa v18, v14, v20 dst_sel:DWORD dst_unused:UNUSED_PAD src0_sel:WORD_1 src1_sel:WORD_1
	v_lshrrev_b32_e32 v6, 16, v6
	v_fma_f16 v18, v18, -0.5, v6
	v_sub_f16_e32 v71, v10, v22
	v_sub_f16_sdwa v72, v10, v14 dst_sel:DWORD dst_unused:UNUSED_PAD src0_sel:WORD_1 src1_sel:WORD_1
	v_sub_f16_sdwa v73, v22, v20 dst_sel:DWORD dst_unused:UNUSED_PAD src0_sel:WORD_1 src1_sel:WORD_1
	v_fma_f16 v63, v65, s14, v63
	v_fma_f16 v65, v71, s15, v18
	v_add_f16_e32 v72, v72, v73
	v_sub_f16_e32 v73, v14, v20
	v_fma_f16 v65, v73, s16, v65
	v_fma_f16 v74, v72, s14, v65
	;; [unrolled: 1-line block ×3, first 2 shown]
	v_add_f16_sdwa v65, v10, v22 dst_sel:DWORD dst_unused:UNUSED_PAD src0_sel:WORD_1 src1_sel:WORD_1
	v_pk_add_f16 v5, v5, v14
	v_fma_f16 v18, v73, s12, v18
	v_fma_f16 v6, v65, -0.5, v6
	v_pk_add_f16 v5, v5, v20
	v_fma_f16 v18, v72, s14, v18
	v_pk_add_f16 v72, v5, v22
	v_sub_f16_sdwa v5, v14, v10 dst_sel:DWORD dst_unused:UNUSED_PAD src0_sel:WORD_1 src1_sel:WORD_1
	v_fma_f16 v10, v73, s13, v6
	v_sub_f16_sdwa v14, v20, v22 dst_sel:DWORD dst_unused:UNUSED_PAD src0_sel:WORD_1 src1_sel:WORD_1
	v_fma_f16 v6, v73, s15, v6
	v_fma_f16 v10, v71, s16, v10
	v_add_f16_e32 v5, v5, v14
	v_fma_f16 v6, v71, s12, v6
	v_fma_f16 v10, v5, s14, v10
	;; [unrolled: 1-line block ×3, first 2 shown]
	v_mul_f16_e32 v5, 0x3a79, v16
	v_fma_f16 v14, v74, s12, v5
	v_mul_f16_e32 v5, 0x3b9c, v10
	v_fma_f16 v22, v63, s14, v5
	;; [unrolled: 2-line block ×3, first 2 shown]
	v_mul_f16_e32 v5, 0xba79, v28
	v_mul_f16_e32 v63, 0xbb9c, v63
	;; [unrolled: 1-line block ×3, first 2 shown]
	v_fma_f16 v76, v18, s12, v5
	v_fma_f16 v10, v10, s14, v63
	;; [unrolled: 1-line block ×3, first 2 shown]
	v_mul_f16_e32 v18, 0xba79, v18
	v_add_f16_e32 v71, v68, v22
	v_add_f16_e32 v75, v7, v73
	v_mul_f16_e32 v5, 0xb8b4, v16
	v_add_f16_e32 v12, v8, v10
	v_fma_f16 v18, v28, s16, v18
	v_add_f16_e32 v28, v2, v6
	v_sub_f16_e32 v22, v68, v22
	v_sub_f16_e32 v68, v7, v73
	;; [unrolled: 1-line block ×4, first 2 shown]
	v_pack_b32_f16 v2, v19, v62
	v_pack_b32_f16 v7, v66, v15
	;; [unrolled: 1-line block ×3, first 2 shown]
	v_or_b32_e32 v4, 16, v60
	v_fma_f16 v16, v74, s17, v5
	s_waitcnt lgkmcnt(0)
	; wave barrier
	ds_write2_b64 v64, v[1:2], v[6:7] offset1:1
	v_pack_b32_f16 v6, v9, v17
	v_pack_b32_f16 v7, v21, v11
	;; [unrolled: 1-line block ×3, first 2 shown]
	v_mul_u32_u24_e32 v65, 10, v4
	v_add_f16_e32 v20, v29, v14
	v_add_f16_e32 v63, v70, v16
	ds_write2_b64 v64, v[2:3], v[6:7] offset0:2 offset1:3
	v_pack_b32_f16 v2, v24, v26
	v_pack_b32_f16 v1, v23, v13
	v_add_lshl_u32 v65, v36, v65, 2
	v_add_f16_e32 v77, v27, v76
	v_pk_add_f16 v5, v25, v72
	v_sub_f16_e32 v14, v29, v14
	v_add_f16_e32 v29, v69, v18
	v_sub_f16_e32 v16, v70, v16
	ds_write_b64 v64, v[1:2] offset:32
	v_pack_b32_f16 v6, v20, v63
	v_pack_b32_f16 v2, v75, v28
	;; [unrolled: 1-line block ×3, first 2 shown]
	v_sub_f16_e32 v27, v27, v76
	v_sub_f16_e32 v18, v69, v18
	ds_write2_b64 v65, v[5:6], v[1:2] offset1:1
	v_pk_add_f16 v2, v25, v72 neg_lo:[0,1] neg_hi:[0,1]
	v_pack_b32_f16 v5, v14, v16
	v_pack_b32_f16 v6, v22, v8
	;; [unrolled: 1-line block ×3, first 2 shown]
	ds_write2_b64 v65, v[1:2], v[5:6] offset0:2 offset1:3
	v_pack_b32_f16 v2, v27, v18
	v_pack_b32_f16 v1, v68, v10
	ds_write_b64 v65, v[1:2] offset:32
	v_add_u32_e32 v1, -10, v60
	v_cmp_gt_u32_e32 vcc, 10, v60
	v_cndmask_b32_e32 v16, v1, v60, vcc
	v_mul_i32_i24_e32 v1, 12, v16
	v_mul_hi_i32_i24_e32 v2, 12, v16
	v_mov_b32_e32 v25, s3
	v_add_co_u32_e32 v1, vcc, s2, v1
	v_addc_co_u32_e32 v2, vcc, v25, v2, vcc
	s_waitcnt lgkmcnt(0)
	; wave barrier
	s_waitcnt lgkmcnt(0)
	global_load_dwordx3 v[1:3], v[1:2], off
	v_mad_u64_u32 v[31:32], s[18:19], s10, v33, 0
	ds_read2_b32 v[10:11], v43 offset1:16
	ds_read2_b32 v[12:13], v43 offset0:64 offset1:80
	ds_read2_b32 v[14:15], v43 offset0:160 offset1:176
	ds_read2_b32 v[22:23], v43 offset0:224 offset1:240
	v_mov_b32_e32 v5, v32
	v_mad_u64_u32 v[32:33], s[10:11], s11, v33, v[5:6]
	v_mul_lo_u16_e32 v5, 26, v4
	v_lshrrev_b16_e32 v30, 8, v5
	v_mul_lo_u16_e32 v5, 10, v30
	v_sub_u16_e32 v63, v4, v5
	v_mul_lo_u16_e32 v4, 12, v63
	v_and_b32_e32 v4, 0xfc, v4
	v_add_co_u32_e32 v4, vcc, s2, v4
	v_addc_co_u32_e32 v5, vcc, 0, v25, vcc
	global_load_dwordx3 v[4:6], v[4:5], off
	s_waitcnt lgkmcnt(2)
	v_lshrrev_b32_e32 v7, 16, v13
	s_waitcnt lgkmcnt(1)
	v_lshrrev_b32_e32 v8, 16, v14
	v_or_b32_e32 v33, 32, v60
	v_mul_lo_u16_e32 v72, 26, v33
	s_waitcnt lgkmcnt(0)
	v_lshrrev_b32_e32 v9, 16, v23
	v_add_u32_e32 v62, 0x400, v43
	v_mul_lo_u16_e32 v74, 26, v0
	ds_read2_b32 v[26:27], v43 offset0:96 offset1:112
	ds_read2_b32 v[28:29], v62 offset1:16
	ds_read2_b32 v[68:69], v43 offset0:32 offset1:48
	v_lshrrev_b32_e32 v17, 16, v10
	v_cmp_lt_u32_e32 vcc, 9, v60
	v_mad_legacy_u16 v30, v30, 40, v63
	s_waitcnt lgkmcnt(2)
	v_lshrrev_b32_e32 v63, 16, v26
	s_waitcnt vmcnt(1)
	v_mul_f16_sdwa v18, v7, v1 dst_sel:DWORD dst_unused:UNUSED_PAD src0_sel:DWORD src1_sel:WORD_1
	v_fma_f16 v18, v13, v1, -v18
	v_mul_f16_sdwa v13, v13, v1 dst_sel:DWORD dst_unused:UNUSED_PAD src0_sel:DWORD src1_sel:WORD_1
	v_fma_f16 v19, v7, v1, v13
	v_mul_f16_sdwa v7, v8, v2 dst_sel:DWORD dst_unused:UNUSED_PAD src0_sel:DWORD src1_sel:WORD_1
	v_fma_f16 v20, v14, v2, -v7
	v_mul_f16_sdwa v7, v14, v2 dst_sel:DWORD dst_unused:UNUSED_PAD src0_sel:DWORD src1_sel:WORD_1
	v_mov_b32_e32 v14, 10
	v_fma_f16 v21, v8, v2, v7
	v_mul_lo_u16_sdwa v7, v72, v14 dst_sel:DWORD dst_unused:UNUSED_PAD src0_sel:BYTE_1 src1_sel:DWORD
	v_sub_u16_e32 v7, v33, v7
	v_and_b32_e32 v73, 0xff, v7
	v_mad_u64_u32 v[7:8], s[10:11], v73, 12, s[2:3]
	v_mul_f16_sdwa v13, v9, v3 dst_sel:DWORD dst_unused:UNUSED_PAD src0_sel:DWORD src1_sel:WORD_1
	v_fma_f16 v24, v23, v3, -v13
	v_mul_f16_sdwa v13, v23, v3 dst_sel:DWORD dst_unused:UNUSED_PAD src0_sel:DWORD src1_sel:WORD_1
	v_fma_f16 v23, v9, v3, v13
	global_load_dwordx3 v[7:9], v[7:8], off
	v_mul_lo_u16_sdwa v13, v74, v14 dst_sel:DWORD dst_unused:UNUSED_PAD src0_sel:BYTE_1 src1_sel:DWORD
	v_sub_u16_e32 v0, v0, v13
	v_and_b32_e32 v75, 0xff, v0
	v_or_b32_e32 v0, 64, v60
	v_mul_lo_u16_e32 v66, 0x67, v0
	v_lshrrev_b16_e32 v76, 10, v66
	v_mul_lo_u16_e32 v66, 10, v76
	v_sub_u16_e32 v0, v0, v66
	v_mad_u64_u32 v[13:14], s[10:11], v75, 12, s[2:3]
	v_and_b32_e32 v77, 0xff, v0
	v_sub_f16_e32 v0, v10, v20
	v_sub_f16_e32 v20, v17, v21
	;; [unrolled: 1-line block ×4, first 2 shown]
	v_fma_f16 v10, v10, 2.0, -v0
	v_fma_f16 v17, v17, 2.0, -v20
	;; [unrolled: 1-line block ×4, first 2 shown]
	v_mad_u64_u32 v[23:24], s[10:11], v77, 12, s[2:3]
	v_sub_f16_e32 v67, v10, v18
	v_sub_f16_e32 v78, v17, v19
	v_cndmask_b32_e64 v18, 0, 40, vcc
	v_sub_f16_e32 v80, v0, v66
	v_add_f16_e32 v81, v20, v21
	v_fma_f16 v10, v10, 2.0, -v67
	v_fma_f16 v17, v17, 2.0, -v78
	v_add_u32_e32 v79, v16, v18
	v_fma_f16 v0, v0, 2.0, -v80
	v_fma_f16 v16, v20, 2.0, -v81
	v_pack_b32_f16 v10, v10, v17
	v_pack_b32_f16 v0, v0, v16
	global_load_dwordx3 v[19:21], v[13:14], off
	global_load_dwordx3 v[16:18], v[23:24], off
	v_add_lshl_u32 v66, v36, v79, 2
	ds_read2_b32 v[13:14], v43 offset0:192 offset1:208
	ds_read2_b32 v[23:24], v43 offset0:128 offset1:144
	;; [unrolled: 1-line block ×3, first 2 shown]
	s_waitcnt lgkmcnt(0)
	; wave barrier
	s_waitcnt lgkmcnt(0)
	ds_write2_b32 v66, v10, v0 offset1:10
	v_pack_b32_f16 v0, v67, v78
	v_pack_b32_f16 v10, v80, v81
	s_waitcnt vmcnt(3)
	v_mul_f16_sdwa v67, v26, v4 dst_sel:DWORD dst_unused:UNUSED_PAD src0_sel:DWORD src1_sel:WORD_1
	ds_write2_b32 v66, v0, v10 offset0:20 offset1:30
	v_lshrrev_b32_e32 v0, 16, v15
	v_fma_f16 v67, v63, v4, v67
	v_mul_f16_sdwa v63, v63, v4 dst_sel:DWORD dst_unused:UNUSED_PAD src0_sel:DWORD src1_sel:WORD_1
	v_mul_f16_sdwa v10, v0, v5 dst_sel:DWORD dst_unused:UNUSED_PAD src0_sel:DWORD src1_sel:WORD_1
	v_fma_f16 v26, v26, v4, -v63
	v_lshrrev_b32_e32 v63, 16, v28
	v_mul_f16_sdwa v78, v28, v6 dst_sel:DWORD dst_unused:UNUSED_PAD src0_sel:DWORD src1_sel:WORD_1
	v_fma_f16 v10, v15, v5, -v10
	v_mul_f16_sdwa v15, v15, v5 dst_sel:DWORD dst_unused:UNUSED_PAD src0_sel:DWORD src1_sel:WORD_1
	v_fma_f16 v78, v63, v6, v78
	v_mul_f16_sdwa v63, v63, v6 dst_sel:DWORD dst_unused:UNUSED_PAD src0_sel:DWORD src1_sel:WORD_1
	v_fma_f16 v0, v0, v5, v15
	v_lshrrev_b32_e32 v15, 16, v11
	v_fma_f16 v28, v28, v6, -v63
	v_sub_f16_e32 v10, v11, v10
	v_sub_f16_e32 v0, v15, v0
	;; [unrolled: 1-line block ×4, first 2 shown]
	v_fma_f16 v11, v11, 2.0, -v10
	v_fma_f16 v15, v15, 2.0, -v0
	;; [unrolled: 1-line block ×4, first 2 shown]
	v_sub_f16_e32 v26, v11, v26
	v_sub_f16_e32 v78, v15, v67
	v_fma_f16 v11, v11, 2.0, -v26
	v_fma_f16 v15, v15, 2.0, -v78
	v_pack_b32_f16 v11, v11, v15
	v_sub_f16_e32 v15, v10, v63
	v_add_f16_e32 v28, v0, v28
	v_fma_f16 v10, v10, 2.0, -v15
	v_fma_f16 v0, v0, 2.0, -v28
	v_pack_b32_f16 v0, v10, v0
	v_and_b32_e32 v10, 0xff, v30
	v_add_lshl_u32 v67, v36, v10, 2
	ds_write2_b32 v67, v11, v0 offset1:10
	v_pack_b32_f16 v0, v26, v78
	v_pack_b32_f16 v11, v15, v28
	v_lshrrev_b32_e32 v15, 16, v27
	ds_write2_b32 v67, v0, v11 offset0:20 offset1:30
	s_waitcnt vmcnt(2)
	v_mul_f16_sdwa v11, v15, v7 dst_sel:DWORD dst_unused:UNUSED_PAD src0_sel:DWORD src1_sel:WORD_1
	v_fma_f16 v11, v27, v7, -v11
	v_mul_f16_sdwa v26, v27, v7 dst_sel:DWORD dst_unused:UNUSED_PAD src0_sel:DWORD src1_sel:WORD_1
	v_lshrrev_b32_e32 v27, 16, v29
	v_fma_f16 v15, v15, v7, v26
	v_mul_f16_sdwa v26, v27, v9 dst_sel:DWORD dst_unused:UNUSED_PAD src0_sel:DWORD src1_sel:WORD_1
	v_lshrrev_b32_e32 v0, 16, v13
	v_fma_f16 v26, v29, v9, -v26
	v_mul_f16_sdwa v28, v29, v9 dst_sel:DWORD dst_unused:UNUSED_PAD src0_sel:DWORD src1_sel:WORD_1
	v_mul_f16_sdwa v29, v13, v8 dst_sel:DWORD dst_unused:UNUSED_PAD src0_sel:DWORD src1_sel:WORD_1
	v_fma_f16 v29, v0, v8, v29
	v_mul_f16_sdwa v0, v0, v8 dst_sel:DWORD dst_unused:UNUSED_PAD src0_sel:DWORD src1_sel:WORD_1
	v_lshrrev_b32_e32 v10, 16, v68
	v_fma_f16 v0, v13, v8, -v0
	v_fma_f16 v13, v27, v9, v28
	v_sub_f16_e32 v0, v68, v0
	v_sub_f16_e32 v27, v10, v29
	;; [unrolled: 1-line block ×4, first 2 shown]
	v_mov_b32_e32 v28, 40
	v_fma_f16 v30, v68, 2.0, -v0
	v_fma_f16 v10, v10, 2.0, -v27
	;; [unrolled: 1-line block ×4, first 2 shown]
	v_mul_u32_u24_sdwa v29, v72, v28 dst_sel:DWORD dst_unused:UNUSED_PAD src0_sel:BYTE_1 src1_sel:DWORD
	v_sub_f16_e32 v11, v30, v11
	v_sub_f16_e32 v15, v10, v15
	;; [unrolled: 1-line block ×3, first 2 shown]
	v_add_f16_e32 v26, v27, v26
	v_add_u32_e32 v29, v29, v73
	v_fma_f16 v30, v30, 2.0, -v11
	v_fma_f16 v10, v10, 2.0, -v15
	;; [unrolled: 1-line block ×4, first 2 shown]
	v_pack_b32_f16 v10, v30, v10
	v_lshrrev_b32_e32 v30, 16, v23
	v_pack_b32_f16 v27, v0, v27
	v_lshrrev_b32_e32 v63, 16, v14
	v_add_lshl_u32 v0, v36, v29, 2
	s_waitcnt vmcnt(1)
	v_mul_f16_sdwa v29, v23, v19 dst_sel:DWORD dst_unused:UNUSED_PAD src0_sel:DWORD src1_sel:WORD_1
	ds_write2_b32 v0, v10, v27 offset1:10
	v_lshrrev_b32_e32 v10, 16, v24
	v_mul_f16_sdwa v27, v63, v20 dst_sel:DWORD dst_unused:UNUSED_PAD src0_sel:DWORD src1_sel:WORD_1
	v_fma_f16 v29, v30, v19, v29
	v_mul_f16_sdwa v30, v30, v19 dst_sel:DWORD dst_unused:UNUSED_PAD src0_sel:DWORD src1_sel:WORD_1
	v_fma_f16 v27, v14, v20, -v27
	v_mul_f16_sdwa v14, v14, v20 dst_sel:DWORD dst_unused:UNUSED_PAD src0_sel:DWORD src1_sel:WORD_1
	v_fma_f16 v23, v23, v19, -v30
	s_waitcnt vmcnt(0)
	v_mul_f16_sdwa v30, v10, v16 dst_sel:DWORD dst_unused:UNUSED_PAD src0_sel:DWORD src1_sel:WORD_1
	v_fma_f16 v14, v63, v20, v14
	v_fma_f16 v30, v24, v16, -v30
	v_mul_f16_sdwa v24, v24, v16 dst_sel:DWORD dst_unused:UNUSED_PAD src0_sel:DWORD src1_sel:WORD_1
	v_lshrrev_b32_e32 v63, 16, v22
	v_fma_f16 v10, v10, v16, v24
	v_mul_f16_sdwa v24, v63, v17 dst_sel:DWORD dst_unused:UNUSED_PAD src0_sel:DWORD src1_sel:WORD_1
	v_fma_f16 v24, v22, v17, -v24
	v_mul_f16_sdwa v22, v22, v17 dst_sel:DWORD dst_unused:UNUSED_PAD src0_sel:DWORD src1_sel:WORD_1
	v_lshrrev_b32_e32 v68, 16, v70
	v_fma_f16 v22, v63, v17, v22
	v_mul_f16_sdwa v63, v70, v21 dst_sel:DWORD dst_unused:UNUSED_PAD src0_sel:DWORD src1_sel:WORD_1
	v_fma_f16 v63, v68, v21, v63
	v_mul_f16_sdwa v68, v68, v21 dst_sel:DWORD dst_unused:UNUSED_PAD src0_sel:DWORD src1_sel:WORD_1
	v_fma_f16 v68, v70, v21, -v68
	v_lshrrev_b32_e32 v70, 16, v71
	v_mul_f16_sdwa v72, v70, v18 dst_sel:DWORD dst_unused:UNUSED_PAD src0_sel:DWORD src1_sel:WORD_1
	v_fma_f16 v72, v71, v18, -v72
	v_mul_f16_sdwa v71, v71, v18 dst_sel:DWORD dst_unused:UNUSED_PAD src0_sel:DWORD src1_sel:WORD_1
	v_fma_f16 v70, v70, v18, v71
	v_lshrrev_b32_e32 v71, 16, v69
	v_sub_f16_e32 v27, v69, v27
	v_sub_f16_e32 v14, v71, v14
	;; [unrolled: 1-line block ×4, first 2 shown]
	v_fma_f16 v69, v69, 2.0, -v27
	v_fma_f16 v71, v71, 2.0, -v14
	;; [unrolled: 1-line block ×4, first 2 shown]
	v_pack_b32_f16 v11, v11, v15
	v_pack_b32_f16 v13, v13, v26
	v_sub_f16_e32 v23, v69, v23
	v_sub_f16_e32 v29, v71, v29
	;; [unrolled: 1-line block ×3, first 2 shown]
	v_add_f16_e32 v68, v14, v68
	ds_write2_b32 v0, v11, v13 offset0:20 offset1:30
	v_mul_u32_u24_sdwa v11, v74, v28 dst_sel:DWORD dst_unused:UNUSED_PAD src0_sel:BYTE_1 src1_sel:DWORD
	v_lshrrev_b32_e32 v73, 16, v12
	v_fma_f16 v69, v69, 2.0, -v23
	v_fma_f16 v71, v71, 2.0, -v29
	;; [unrolled: 1-line block ×4, first 2 shown]
	v_add_u32_e32 v11, v11, v75
	v_sub_f16_e32 v24, v12, v24
	v_sub_f16_e32 v22, v73, v22
	;; [unrolled: 1-line block ×4, first 2 shown]
	v_add_lshl_u32 v74, v36, v11, 2
	v_pack_b32_f16 v11, v69, v71
	v_pack_b32_f16 v13, v27, v14
	v_fma_f16 v12, v12, 2.0, -v24
	v_fma_f16 v73, v73, 2.0, -v22
	;; [unrolled: 1-line block ×4, first 2 shown]
	ds_write2_b32 v74, v11, v13 offset1:10
	v_pack_b32_f16 v11, v23, v29
	v_pack_b32_f16 v13, v63, v68
	v_sub_f16_e32 v30, v12, v30
	v_sub_f16_e32 v10, v73, v10
	;; [unrolled: 1-line block ×3, first 2 shown]
	v_add_f16_e32 v72, v22, v72
	ds_write2_b32 v74, v11, v13 offset0:20 offset1:30
	v_mul_u32_u24_e32 v11, 40, v76
	v_mad_u64_u32 v[26:27], s[10:11], v60, 12, s[2:3]
	v_fma_f16 v12, v12, 2.0, -v30
	v_fma_f16 v73, v73, 2.0, -v10
	;; [unrolled: 1-line block ×4, first 2 shown]
	v_add_u32_e32 v11, v11, v77
	v_add_lshl_u32 v78, v36, v11, 2
	v_pack_b32_f16 v11, v12, v73
	v_pack_b32_f16 v12, v24, v22
	ds_write2_b32 v78, v11, v12 offset1:10
	v_pack_b32_f16 v10, v30, v10
	v_pack_b32_f16 v11, v70, v72
	ds_write2_b32 v78, v10, v11 offset0:20 offset1:30
	s_waitcnt lgkmcnt(0)
	; wave barrier
	s_waitcnt lgkmcnt(0)
	global_load_dwordx3 v[10:12], v[26:27], off offset:120
	global_load_dwordx3 v[22:24], v[26:27], off offset:312
	v_cmp_gt_u64_e32 vcc, 40, v[33:34]
	v_add_u32_e32 v28, -8, v60
	v_cndmask_b32_e32 v77, v28, v33, vcc
	v_mul_i32_i24_e32 v28, 12, v77
	v_mul_hi_i32_i24_e32 v29, 12, v77
	v_add_co_u32_e32 v28, vcc, s2, v28
	v_addc_co_u32_e32 v29, vcc, v25, v29, vcc
	ds_read2_b32 v[68:69], v43 offset1:16
	ds_read2_b32 v[70:71], v43 offset0:160 offset1:176
	global_load_dwordx3 v[13:15], v[26:27], off offset:216
	v_cmp_lt_u64_e32 vcc, 39, v[33:34]
	global_load_dwordx3 v[28:30], v[28:29], off offset:120
	s_waitcnt lgkmcnt(1)
	v_lshrrev_b32_e32 v87, 16, v69
	s_waitcnt lgkmcnt(0)
	v_lshrrev_b32_e32 v72, 16, v70
	v_lshrrev_b32_e32 v73, 16, v71
	;; [unrolled: 1-line block ×3, first 2 shown]
	s_movk_i32 s10, 0x40f
	s_mov_b32 s11, 0x8000
	s_waitcnt vmcnt(3)
	v_mul_f16_sdwa v25, v72, v11 dst_sel:DWORD dst_unused:UNUSED_PAD src0_sel:DWORD src1_sel:WORD_1
	v_fma_f16 v75, v70, v11, -v25
	v_mul_f16_sdwa v25, v70, v11 dst_sel:DWORD dst_unused:UNUSED_PAD src0_sel:DWORD src1_sel:WORD_1
	v_fma_f16 v76, v72, v11, v25
	global_load_dwordx3 v[25:27], v[26:27], off offset:408
	s_waitcnt vmcnt(3)
	v_mul_f16_sdwa v70, v73, v23 dst_sel:DWORD dst_unused:UNUSED_PAD src0_sel:DWORD src1_sel:WORD_1
	v_fma_f16 v72, v71, v23, -v70
	v_mul_f16_sdwa v70, v71, v23 dst_sel:DWORD dst_unused:UNUSED_PAD src0_sel:DWORD src1_sel:WORD_1
	v_fma_f16 v88, v73, v23, v70
	ds_read2_b32 v[70:71], v43 offset0:64 offset1:80
	v_sub_f16_e32 v89, v69, v72
	ds_read2_b32 v[72:73], v43 offset0:224 offset1:240
	v_fma_f16 v90, v69, 2.0, -v89
	v_sub_f16_e32 v75, v68, v75
	s_waitcnt lgkmcnt(1)
	v_lshrrev_b32_e32 v69, 16, v71
	v_mul_f16_sdwa v79, v71, v10 dst_sel:DWORD dst_unused:UNUSED_PAD src0_sel:DWORD src1_sel:WORD_1
	v_fma_f16 v79, v69, v10, v79
	v_mul_f16_sdwa v69, v69, v10 dst_sel:DWORD dst_unused:UNUSED_PAD src0_sel:DWORD src1_sel:WORD_1
	v_fma_f16 v69, v71, v10, -v69
	s_waitcnt lgkmcnt(0)
	v_lshrrev_b32_e32 v71, 16, v73
	v_mul_f16_sdwa v80, v73, v12 dst_sel:DWORD dst_unused:UNUSED_PAD src0_sel:DWORD src1_sel:WORD_1
	v_fma_f16 v80, v71, v12, v80
	v_mul_f16_sdwa v71, v71, v12 dst_sel:DWORD dst_unused:UNUSED_PAD src0_sel:DWORD src1_sel:WORD_1
	v_fma_f16 v71, v73, v12, -v71
	v_sub_f16_e32 v73, v63, v76
	v_sub_f16_e32 v71, v69, v71
	;; [unrolled: 1-line block ×3, first 2 shown]
	v_fma_f16 v68, v68, 2.0, -v75
	v_fma_f16 v63, v63, 2.0, -v73
	;; [unrolled: 1-line block ×4, first 2 shown]
	v_sub_f16_e32 v91, v68, v69
	v_sub_f16_e32 v92, v63, v79
	v_fma_f16 v68, v68, 2.0, -v91
	v_fma_f16 v63, v63, 2.0, -v92
	v_sub_f16_e32 v93, v75, v76
	v_add_f16_e32 v71, v73, v71
	v_pack_b32_f16 v63, v68, v63
	v_fma_f16 v68, v75, 2.0, -v93
	v_fma_f16 v69, v73, 2.0, -v71
	v_pack_b32_f16 v73, v68, v69
	ds_read2_b32 v[68:69], v43 offset0:96 offset1:112
	ds_read2_b32 v[75:76], v62 offset1:16
	ds_read2_b32 v[79:80], v43 offset0:32 offset1:48
	ds_read2_b32 v[81:82], v43 offset0:192 offset1:208
	;; [unrolled: 1-line block ×4, first 2 shown]
	s_waitcnt lgkmcnt(0)
	; wave barrier
	s_waitcnt lgkmcnt(0)
	ds_write_b32 v43, v73 offset:160
	v_pack_b32_f16 v73, v91, v92
	v_pack_b32_f16 v71, v93, v71
	ds_write_b32 v43, v73 offset:320
	ds_write_b32 v43, v71 offset:480
	v_lshrrev_b32_e32 v71, 16, v68
	v_mul_f16_sdwa v73, v68, v22 dst_sel:DWORD dst_unused:UNUSED_PAD src0_sel:DWORD src1_sel:WORD_1
	v_fma_f16 v73, v71, v22, v73
	v_mul_f16_sdwa v71, v71, v22 dst_sel:DWORD dst_unused:UNUSED_PAD src0_sel:DWORD src1_sel:WORD_1
	v_fma_f16 v68, v68, v22, -v71
	v_lshrrev_b32_e32 v71, 16, v75
	v_mul_f16_sdwa v91, v75, v24 dst_sel:DWORD dst_unused:UNUSED_PAD src0_sel:DWORD src1_sel:WORD_1
	v_fma_f16 v91, v71, v24, v91
	v_mul_f16_sdwa v71, v71, v24 dst_sel:DWORD dst_unused:UNUSED_PAD src0_sel:DWORD src1_sel:WORD_1
	v_fma_f16 v71, v75, v24, -v71
	v_sub_f16_e32 v75, v87, v88
	v_sub_f16_e32 v71, v68, v71
	v_sub_f16_e32 v88, v73, v91
	v_fma_f16 v87, v87, 2.0, -v75
	v_fma_f16 v68, v68, 2.0, -v71
	;; [unrolled: 1-line block ×3, first 2 shown]
	v_sub_f16_e32 v68, v90, v68
	v_sub_f16_e32 v73, v87, v73
	v_fma_f16 v90, v90, 2.0, -v68
	v_fma_f16 v87, v87, 2.0, -v73
	v_pack_b32_f16 v87, v90, v87
	ds_write2_b32 v43, v63, v87 offset1:16
	v_lshrrev_b32_e32 v87, 16, v69
	s_waitcnt vmcnt(1)
	v_mul_f16_sdwa v90, v87, v28 dst_sel:DWORD dst_unused:UNUSED_PAD src0_sel:DWORD src1_sel:WORD_1
	v_fma_f16 v90, v69, v28, -v90
	v_mul_f16_sdwa v69, v69, v28 dst_sel:DWORD dst_unused:UNUSED_PAD src0_sel:DWORD src1_sel:WORD_1
	v_fma_f16 v69, v87, v28, v69
	v_lshrrev_b32_e32 v87, 16, v76
	v_mul_f16_sdwa v91, v87, v30 dst_sel:DWORD dst_unused:UNUSED_PAD src0_sel:DWORD src1_sel:WORD_1
	v_mov_b32_e32 v63, 0xa0
	v_fma_f16 v91, v76, v30, -v91
	v_mul_f16_sdwa v76, v76, v30 dst_sel:DWORD dst_unused:UNUSED_PAD src0_sel:DWORD src1_sel:WORD_1
	v_fma_f16 v76, v87, v30, v76
	v_sub_f16_e32 v87, v89, v88
	v_add_f16_e32 v71, v75, v71
	v_pack_b32_f16 v68, v68, v73
	v_cndmask_b32_e32 v33, 0, v63, vcc
	ds_write_b32 v43, v68 offset:384
	v_pack_b32_f16 v68, v87, v71
	v_add_u32_e32 v33, v33, v77
	ds_write_b32 v43, v68 offset:544
	v_add_lshl_u32 v68, v36, v33, 2
	v_lshrrev_b32_e32 v33, 16, v81
	v_mul_f16_sdwa v34, v81, v29 dst_sel:DWORD dst_unused:UNUSED_PAD src0_sel:DWORD src1_sel:WORD_1
	v_fma_f16 v34, v33, v29, v34
	v_mul_f16_sdwa v33, v33, v29 dst_sel:DWORD dst_unused:UNUSED_PAD src0_sel:DWORD src1_sel:WORD_1
	v_fma_f16 v88, v89, 2.0, -v87
	v_fma_f16 v75, v75, 2.0, -v71
	v_fma_f16 v33, v81, v29, -v33
	v_lshrrev_b32_e32 v36, 16, v79
	v_pack_b32_f16 v75, v88, v75
	v_sub_f16_e32 v33, v79, v33
	v_sub_f16_e32 v34, v36, v34
	;; [unrolled: 1-line block ×4, first 2 shown]
	ds_write_b32 v43, v75 offset:224
	v_fma_f16 v36, v36, 2.0, -v34
	v_fma_f16 v73, v90, 2.0, -v63
	;; [unrolled: 1-line block ×4, first 2 shown]
	v_sub_f16_e32 v73, v75, v73
	v_sub_f16_e32 v69, v36, v69
	;; [unrolled: 1-line block ×3, first 2 shown]
	v_add_f16_e32 v63, v34, v63
	v_fma_f16 v75, v75, 2.0, -v73
	v_fma_f16 v36, v36, 2.0, -v69
	;; [unrolled: 1-line block ×4, first 2 shown]
	v_pack_b32_f16 v36, v75, v36
	v_pack_b32_f16 v33, v33, v34
	ds_write2_b32 v68, v36, v33 offset1:40
	v_pack_b32_f16 v33, v73, v69
	v_lshrrev_b32_e32 v69, 16, v84
	s_waitcnt vmcnt(0)
	v_mul_f16_sdwa v73, v84, v25 dst_sel:DWORD dst_unused:UNUSED_PAD src0_sel:DWORD src1_sel:WORD_1
	v_pack_b32_f16 v34, v71, v63
	v_mul_f16_sdwa v71, v69, v25 dst_sel:DWORD dst_unused:UNUSED_PAD src0_sel:DWORD src1_sel:WORD_1
	v_fma_f16 v69, v69, v25, v73
	v_lshrrev_b32_e32 v73, 16, v72
	v_mul_f16_sdwa v75, v73, v26 dst_sel:DWORD dst_unused:UNUSED_PAD src0_sel:DWORD src1_sel:WORD_1
	ds_write2_b32 v68, v33, v34 offset0:80 offset1:120
	v_lshrrev_b32_e32 v33, 16, v82
	v_mul_f16_sdwa v36, v82, v14 dst_sel:DWORD dst_unused:UNUSED_PAD src0_sel:DWORD src1_sel:WORD_1
	v_fma_f16 v75, v72, v26, -v75
	v_mul_f16_sdwa v72, v72, v26 dst_sel:DWORD dst_unused:UNUSED_PAD src0_sel:DWORD src1_sel:WORD_1
	v_mul_f16_sdwa v34, v33, v14 dst_sel:DWORD dst_unused:UNUSED_PAD src0_sel:DWORD src1_sel:WORD_1
	v_fma_f16 v33, v33, v14, v36
	v_lshrrev_b32_e32 v36, 16, v83
	v_mul_f16_sdwa v63, v83, v13 dst_sel:DWORD dst_unused:UNUSED_PAD src0_sel:DWORD src1_sel:WORD_1
	v_fma_f16 v72, v73, v26, v72
	v_lshrrev_b32_e32 v73, 16, v85
	v_mul_f16_sdwa v76, v85, v15 dst_sel:DWORD dst_unused:UNUSED_PAD src0_sel:DWORD src1_sel:WORD_1
	v_fma_f16 v63, v36, v13, v63
	v_mul_f16_sdwa v36, v36, v13 dst_sel:DWORD dst_unused:UNUSED_PAD src0_sel:DWORD src1_sel:WORD_1
	v_fma_f16 v76, v73, v15, v76
	v_mul_f16_sdwa v73, v73, v15 dst_sel:DWORD dst_unused:UNUSED_PAD src0_sel:DWORD src1_sel:WORD_1
	v_lshrrev_b32_e32 v77, 16, v86
	v_mul_f16_sdwa v81, v86, v27 dst_sel:DWORD dst_unused:UNUSED_PAD src0_sel:DWORD src1_sel:WORD_1
	v_fma_f16 v34, v82, v14, -v34
	v_fma_f16 v36, v83, v13, -v36
	;; [unrolled: 1-line block ×3, first 2 shown]
	v_mul_f16_sdwa v79, v77, v27 dst_sel:DWORD dst_unused:UNUSED_PAD src0_sel:DWORD src1_sel:WORD_1
	v_fma_f16 v77, v77, v27, v81
	v_lshrrev_b32_e32 v81, 16, v80
	v_sub_f16_e32 v34, v80, v34
	v_sub_f16_e32 v33, v81, v33
	;; [unrolled: 1-line block ×4, first 2 shown]
	v_fma_f16 v80, v80, 2.0, -v34
	v_fma_f16 v81, v81, 2.0, -v33
	;; [unrolled: 1-line block ×4, first 2 shown]
	v_sub_f16_e32 v76, v34, v76
	v_add_f16_e32 v73, v33, v73
	v_fma_f16 v71, v84, v25, -v71
	v_fma_f16 v79, v86, v27, -v79
	v_lshrrev_b32_e32 v82, 16, v70
	v_sub_f16_e32 v36, v80, v36
	v_sub_f16_e32 v63, v81, v63
	v_fma_f16 v34, v34, 2.0, -v76
	v_fma_f16 v33, v33, 2.0, -v73
	v_sub_f16_e32 v75, v70, v75
	v_fma_f16 v80, v80, 2.0, -v36
	v_fma_f16 v81, v81, 2.0, -v63
	v_pack_b32_f16 v33, v34, v33
	v_pack_b32_f16 v34, v36, v63
	;; [unrolled: 1-line block ×3, first 2 shown]
	v_sub_f16_e32 v63, v82, v72
	v_sub_f16_e32 v73, v71, v79
	;; [unrolled: 1-line block ×3, first 2 shown]
	v_fma_f16 v70, v70, 2.0, -v75
	v_fma_f16 v72, v82, 2.0, -v63
	;; [unrolled: 1-line block ×4, first 2 shown]
	v_sub_f16_e32 v71, v70, v71
	v_sub_f16_e32 v69, v72, v69
	v_fma_f16 v70, v70, 2.0, -v71
	v_fma_f16 v72, v72, 2.0, -v69
	v_pack_b32_f16 v70, v70, v72
	v_sub_f16_e32 v72, v75, v76
	v_add_f16_e32 v73, v63, v73
	v_fma_f16 v75, v75, 2.0, -v72
	v_fma_f16 v63, v63, 2.0, -v73
	v_pack_b32_f16 v63, v75, v63
	ds_write2_b32 v43, v33, v63 offset0:208 offset1:224
	v_pack_b32_f16 v33, v71, v69
	v_add_u32_e32 v79, 0x200, v43
	v_pack_b32_f16 v80, v80, v81
	ds_write2_b32 v79, v34, v33 offset0:120 offset1:136
	v_pack_b32_f16 v33, v72, v73
	ds_write2_b32 v43, v80, v70 offset0:168 offset1:184
	ds_write2_b32 v62, v36, v33 offset0:32 offset1:48
	s_waitcnt lgkmcnt(0)
	; wave barrier
	s_waitcnt lgkmcnt(0)
	global_load_dword v77, v35, s[2:3] offset:600
	global_load_dword v76, v35, s[2:3] offset:664
	;; [unrolled: 1-line block ×5, first 2 shown]
	ds_read2_b32 v[33:34], v43 offset0:160 offset1:176
	global_load_dword v73, v35, s[2:3] offset:920
	global_load_dword v71, v35, s[2:3] offset:984
	;; [unrolled: 1-line block ×3, first 2 shown]
	ds_read2_b32 v[80:81], v43 offset0:192 offset1:208
	s_waitcnt lgkmcnt(1)
	v_lshrrev_b32_e32 v36, 16, v33
	s_waitcnt vmcnt(7)
	v_mul_f16_sdwa v63, v33, v77 dst_sel:DWORD dst_unused:UNUSED_PAD src0_sel:DWORD src1_sel:WORD_1
	v_fma_f16 v63, v36, v77, v63
	v_mul_f16_sdwa v36, v36, v77 dst_sel:DWORD dst_unused:UNUSED_PAD src0_sel:DWORD src1_sel:WORD_1
	v_fma_f16 v36, v33, v77, -v36
	v_lshrrev_b32_e32 v33, 16, v34
	s_waitcnt vmcnt(6)
	v_mul_f16_sdwa v82, v33, v76 dst_sel:DWORD dst_unused:UNUSED_PAD src0_sel:DWORD src1_sel:WORD_1
	v_fma_f16 v82, v34, v76, -v82
	v_mul_f16_sdwa v34, v34, v76 dst_sel:DWORD dst_unused:UNUSED_PAD src0_sel:DWORD src1_sel:WORD_1
	v_fma_f16 v92, v33, v76, v34
	s_waitcnt lgkmcnt(0)
	v_lshrrev_b32_e32 v33, 16, v80
	s_waitcnt vmcnt(5)
	v_mul_f16_sdwa v34, v80, v72 dst_sel:DWORD dst_unused:UNUSED_PAD src0_sel:DWORD src1_sel:WORD_1
	v_fma_f16 v93, v33, v72, v34
	v_mul_f16_sdwa v33, v33, v72 dst_sel:DWORD dst_unused:UNUSED_PAD src0_sel:DWORD src1_sel:WORD_1
	v_fma_f16 v83, v80, v72, -v33
	v_lshrrev_b32_e32 v80, 16, v81
	ds_read2_b32 v[33:34], v43 offset1:16
	s_waitcnt vmcnt(4)
	v_mul_f16_sdwa v84, v80, v70 dst_sel:DWORD dst_unused:UNUSED_PAD src0_sel:DWORD src1_sel:WORD_1
	v_fma_f16 v84, v81, v70, -v84
	v_mul_f16_sdwa v81, v81, v70 dst_sel:DWORD dst_unused:UNUSED_PAD src0_sel:DWORD src1_sel:WORD_1
	v_fma_f16 v94, v80, v70, v81
	ds_read2_b32 v[80:81], v43 offset0:32 offset1:48
	s_waitcnt lgkmcnt(1)
	v_sub_f16_e32 v95, v34, v82
	v_lshrrev_b32_e32 v82, 16, v33
	v_sub_f16_e32 v36, v33, v36
	v_sub_f16_e32 v63, v82, v63
	v_lshrrev_b32_e32 v96, 16, v34
	v_fma_f16 v33, v33, 2.0, -v36
	v_fma_f16 v97, v34, 2.0, -v95
	s_waitcnt lgkmcnt(0)
	v_sub_f16_e32 v98, v80, v83
	v_sub_f16_e32 v99, v81, v84
	v_fma_f16 v34, v82, 2.0, -v63
	v_lshrrev_b32_e32 v100, 16, v80
	v_lshrrev_b32_e32 v101, 16, v81
	v_fma_f16 v102, v80, 2.0, -v98
	v_fma_f16 v103, v81, 2.0, -v99
	v_pack_b32_f16 v81, v33, v34
	ds_read2_b32 v[33:34], v43 offset0:64 offset1:80
	ds_read2_b32 v[82:83], v43 offset0:224 offset1:240
	global_load_dword v80, v35, s[2:3] offset:1112
	ds_read2_b32 v[84:85], v43 offset0:96 offset1:112
	ds_read2_b32 v[86:87], v62 offset1:16
	ds_read2_b32 v[88:89], v43 offset0:128 offset1:144
	ds_read2_b32 v[90:91], v62 offset0:32 offset1:48
	ds_write_b32 v43, v81
	global_load_dword v81, v35, s[2:3] offset:1176
	v_pack_b32_f16 v36, v36, v63
	ds_write_b32 v38, v36 offset:640
	v_sub_f16_e32 v36, v96, v92
	v_fma_f16 v63, v96, 2.0, -v36
	v_pack_b32_f16 v63, v97, v63
	v_pack_b32_f16 v36, v95, v36
	ds_write_b32 v43, v63 offset:64
	ds_write_b32 v38, v36 offset:704
	v_sub_f16_e32 v36, v100, v93
	v_fma_f16 v63, v100, 2.0, -v36
	v_pack_b32_f16 v63, v102, v63
	v_pack_b32_f16 v36, v98, v36
	ds_write_b32 v43, v63 offset:128
	ds_write_b32 v38, v36 offset:768
	v_sub_f16_e32 v36, v101, v94
	v_fma_f16 v63, v101, 2.0, -v36
	v_pack_b32_f16 v63, v103, v63
	ds_write_b32 v43, v63 offset:192
	s_waitcnt lgkmcnt(11)
	v_lshrrev_b32_e32 v63, 16, v82
	s_waitcnt vmcnt(5)
	v_mul_f16_sdwa v92, v82, v75 dst_sel:DWORD dst_unused:UNUSED_PAD src0_sel:DWORD src1_sel:WORD_1
	v_fma_f16 v92, v63, v75, v92
	v_mul_f16_sdwa v63, v63, v75 dst_sel:DWORD dst_unused:UNUSED_PAD src0_sel:DWORD src1_sel:WORD_1
	v_fma_f16 v63, v82, v75, -v63
	v_lshrrev_b32_e32 v82, 16, v33
	v_sub_f16_e32 v63, v33, v63
	v_sub_f16_e32 v92, v82, v92
	v_pack_b32_f16 v36, v99, v36
	v_pack_b32_f16 v93, v63, v92
	ds_write2_b32 v38, v36, v93 offset0:208 offset1:224
	v_lshrrev_b32_e32 v36, 16, v83
	s_waitcnt vmcnt(4)
	v_mul_f16_sdwa v93, v36, v73 dst_sel:DWORD dst_unused:UNUSED_PAD src0_sel:DWORD src1_sel:WORD_1
	v_fma_f16 v93, v83, v73, -v93
	v_mul_f16_sdwa v83, v83, v73 dst_sel:DWORD dst_unused:UNUSED_PAD src0_sel:DWORD src1_sel:WORD_1
	v_fma_f16 v36, v36, v73, v83
	v_lshrrev_b32_e32 v83, 16, v34
	v_fma_f16 v82, v82, 2.0, -v92
	v_fma_f16 v33, v33, 2.0, -v63
	v_sub_f16_e32 v63, v34, v93
	v_sub_f16_e32 v36, v83, v36
	v_fma_f16 v34, v34, 2.0, -v63
	v_pack_b32_f16 v33, v33, v82
	v_fma_f16 v82, v83, 2.0, -v36
	v_pack_b32_f16 v34, v34, v82
	ds_write2_b32 v38, v33, v34 offset0:64 offset1:80
	v_pack_b32_f16 v33, v63, v36
	s_waitcnt lgkmcnt(11)
	v_lshrrev_b32_e32 v34, 16, v86
	s_waitcnt vmcnt(3)
	v_mul_f16_sdwa v36, v86, v71 dst_sel:DWORD dst_unused:UNUSED_PAD src0_sel:DWORD src1_sel:WORD_1
	v_fma_f16 v36, v34, v71, v36
	v_mul_f16_sdwa v34, v34, v71 dst_sel:DWORD dst_unused:UNUSED_PAD src0_sel:DWORD src1_sel:WORD_1
	v_fma_f16 v34, v86, v71, -v34
	v_lshrrev_b32_e32 v82, 16, v84
	v_sub_f16_e32 v34, v84, v34
	v_sub_f16_e32 v36, v82, v36
	v_pack_b32_f16 v83, v34, v36
	v_add_u32_e32 v63, 0x200, v38
	ds_write2_b32 v63, v33, v83 offset0:112 offset1:128
	v_lshrrev_b32_e32 v33, 16, v87
	s_waitcnt vmcnt(2)
	v_mul_f16_sdwa v83, v33, v69 dst_sel:DWORD dst_unused:UNUSED_PAD src0_sel:DWORD src1_sel:WORD_1
	v_fma_f16 v83, v87, v69, -v83
	v_mul_f16_sdwa v86, v87, v69 dst_sel:DWORD dst_unused:UNUSED_PAD src0_sel:DWORD src1_sel:WORD_1
	v_fma_f16 v33, v33, v69, v86
	v_fma_f16 v36, v82, 2.0, -v36
	v_sub_f16_e32 v82, v85, v83
	v_lshrrev_b32_e32 v83, 16, v85
	v_fma_f16 v34, v84, 2.0, -v34
	v_sub_f16_e32 v33, v83, v33
	v_fma_f16 v84, v85, 2.0, -v82
	v_pack_b32_f16 v34, v34, v36
	v_fma_f16 v36, v83, 2.0, -v33
	v_pack_b32_f16 v36, v84, v36
	ds_write2_b32 v38, v34, v36 offset0:96 offset1:112
	s_waitcnt lgkmcnt(11)
	v_lshrrev_b32_e32 v34, 16, v90
	v_pack_b32_f16 v33, v82, v33
	v_lshrrev_b32_e32 v82, 16, v88
	s_mov_b32 s2, 0x9999999a
	s_mov_b32 s3, 0x3f699999
	s_waitcnt vmcnt(1)
	v_mul_f16_sdwa v36, v90, v80 dst_sel:DWORD dst_unused:UNUSED_PAD src0_sel:DWORD src1_sel:WORD_1
	v_fma_f16 v36, v34, v80, v36
	v_mul_f16_sdwa v34, v34, v80 dst_sel:DWORD dst_unused:UNUSED_PAD src0_sel:DWORD src1_sel:WORD_1
	v_fma_f16 v34, v90, v80, -v34
	v_sub_f16_e32 v34, v88, v34
	v_sub_f16_e32 v36, v82, v36
	v_pack_b32_f16 v83, v34, v36
	ds_write2_b32 v55, v33, v83 offset0:16 offset1:32
	v_lshrrev_b32_e32 v33, 16, v91
	s_waitcnt vmcnt(0)
	v_mul_f16_sdwa v83, v33, v81 dst_sel:DWORD dst_unused:UNUSED_PAD src0_sel:DWORD src1_sel:WORD_1
	v_fma_f16 v83, v91, v81, -v83
	v_mul_f16_sdwa v84, v91, v81 dst_sel:DWORD dst_unused:UNUSED_PAD src0_sel:DWORD src1_sel:WORD_1
	v_fma_f16 v33, v33, v81, v84
	v_fma_f16 v36, v82, 2.0, -v36
	v_sub_f16_e32 v82, v89, v83
	v_lshrrev_b32_e32 v83, 16, v89
	v_fma_f16 v34, v88, 2.0, -v34
	v_sub_f16_e32 v33, v83, v33
	v_fma_f16 v84, v89, 2.0, -v82
	v_pack_b32_f16 v34, v34, v36
	v_fma_f16 v36, v83, 2.0, -v33
	v_pack_b32_f16 v36, v84, v36
	v_pack_b32_f16 v33, v82, v33
	ds_write2_b32 v38, v34, v36 offset0:128 offset1:144
	ds_write_b32 v38, v33 offset:1216
	s_waitcnt lgkmcnt(0)
	; wave barrier
	s_waitcnt lgkmcnt(0)
	global_load_dword v33, v35, s[0:1] offset:1280
	global_load_dword v36, v35, s[6:7] offset:128
	;; [unrolled: 1-line block ×13, first 2 shown]
	ds_read_b32 v34, v43
	global_load_dword v93, v35, s[6:7] offset:1216
	global_load_dword v94, v35, s[6:7] offset:192
	;; [unrolled: 1-line block ×4, first 2 shown]
	ds_read_b32 v96, v43 offset:128
	s_mov_b32 s0, 0xb4f2
	s_waitcnt lgkmcnt(1)
	v_lshrrev_b32_e32 v97, 16, v34
	s_mov_b32 s1, 0xba79
	s_waitcnt vmcnt(16)
	v_mul_f16_sdwa v98, v97, v33 dst_sel:DWORD dst_unused:UNUSED_PAD src0_sel:DWORD src1_sel:WORD_1
	v_fma_f16 v98, v34, v33, -v98
	v_mul_f16_sdwa v34, v34, v33 dst_sel:DWORD dst_unused:UNUSED_PAD src0_sel:DWORD src1_sel:WORD_1
	v_fma_f16 v33, v97, v33, v34
	v_pack_b32_f16 v33, v98, v33
	ds_write_b32 v43, v33
	ds_read2_b32 v[33:34], v43 offset0:64 offset1:96
	s_waitcnt lgkmcnt(2)
	v_lshrrev_b32_e32 v97, 16, v96
	s_waitcnt vmcnt(15)
	v_mul_f16_sdwa v98, v97, v36 dst_sel:DWORD dst_unused:UNUSED_PAD src0_sel:DWORD src1_sel:WORD_1
	v_fma_f16 v98, v96, v36, -v98
	v_mul_f16_sdwa v96, v96, v36 dst_sel:DWORD dst_unused:UNUSED_PAD src0_sel:DWORD src1_sel:WORD_1
	v_fma_f16 v36, v97, v36, v96
	s_waitcnt lgkmcnt(0)
	v_lshrrev_b32_e32 v96, 16, v33
	s_waitcnt vmcnt(12)
	v_mul_f16_sdwa v97, v33, v84 dst_sel:DWORD dst_unused:UNUSED_PAD src0_sel:DWORD src1_sel:WORD_1
	v_fma_f16 v97, v96, v84, v97
	v_mul_f16_sdwa v96, v96, v84 dst_sel:DWORD dst_unused:UNUSED_PAD src0_sel:DWORD src1_sel:WORD_1
	v_fma_f16 v84, v33, v84, -v96
	v_lshrrev_b32_e32 v96, 16, v34
	v_mul_f16_sdwa v33, v96, v83 dst_sel:DWORD dst_unused:UNUSED_PAD src0_sel:DWORD src1_sel:WORD_1
	v_fma_f16 v100, v34, v83, -v33
	v_mul_f16_sdwa v101, v34, v83 dst_sel:DWORD dst_unused:UNUSED_PAD src0_sel:DWORD src1_sel:WORD_1
	ds_read2_b32 v[33:34], v43 offset0:128 offset1:160
	v_fma_f16 v83, v96, v83, v101
	v_pack_b32_f16 v84, v84, v97
	v_pack_b32_f16 v83, v100, v83
	ds_write2_b32 v43, v84, v83 offset0:64 offset1:96
	s_waitcnt lgkmcnt(1)
	v_lshrrev_b32_e32 v83, 16, v33
	v_mul_f16_sdwa v84, v33, v82 dst_sel:DWORD dst_unused:UNUSED_PAD src0_sel:DWORD src1_sel:WORD_1
	v_fma_f16 v84, v83, v82, v84
	v_mul_f16_sdwa v83, v83, v82 dst_sel:DWORD dst_unused:UNUSED_PAD src0_sel:DWORD src1_sel:WORD_1
	v_fma_f16 v33, v33, v82, -v83
	global_load_dword v83, v35, s[6:7] offset:576
	v_lshrrev_b32_e32 v82, 16, v34
	s_waitcnt vmcnt(12)
	v_mul_f16_sdwa v96, v82, v85 dst_sel:DWORD dst_unused:UNUSED_PAD src0_sel:DWORD src1_sel:WORD_1
	v_fma_f16 v96, v34, v85, -v96
	v_mul_f16_sdwa v34, v34, v85 dst_sel:DWORD dst_unused:UNUSED_PAD src0_sel:DWORD src1_sel:WORD_1
	v_fma_f16 v34, v82, v85, v34
	v_pack_b32_f16 v33, v33, v84
	v_pack_b32_f16 v34, v96, v34
	ds_write2_b32 v43, v33, v34 offset0:128 offset1:160
	v_pack_b32_f16 v33, v98, v36
	global_load_dword v36, v35, s[6:7] offset:832
	ds_write_b32 v43, v33 offset:128
	ds_read_b32 v33, v38 offset:768
	ds_read_b32 v34, v38 offset:896
	;; [unrolled: 1-line block ×4, first 2 shown]
	global_load_dword v35, v35, s[6:7] offset:1088
	s_movk_i32 s6, 0x1ff
	s_movk_i32 s7, 0xffe
	s_waitcnt lgkmcnt(3)
	v_lshrrev_b32_e32 v85, 16, v33
	s_waitcnt vmcnt(11)
	v_mul_f16_sdwa v96, v85, v88 dst_sel:DWORD dst_unused:UNUSED_PAD src0_sel:DWORD src1_sel:WORD_1
	v_fma_f16 v96, v33, v88, -v96
	v_mul_f16_sdwa v33, v33, v88 dst_sel:DWORD dst_unused:UNUSED_PAD src0_sel:DWORD src1_sel:WORD_1
	v_fma_f16 v33, v85, v88, v33
	s_waitcnt lgkmcnt(2)
	v_lshrrev_b32_e32 v85, 16, v34
	v_mul_f16_sdwa v88, v85, v87 dst_sel:DWORD dst_unused:UNUSED_PAD src0_sel:DWORD src1_sel:WORD_1
	v_fma_f16 v88, v34, v87, -v88
	v_mul_f16_sdwa v34, v34, v87 dst_sel:DWORD dst_unused:UNUSED_PAD src0_sel:DWORD src1_sel:WORD_1
	v_fma_f16 v34, v85, v87, v34
	s_waitcnt lgkmcnt(1)
	v_lshrrev_b32_e32 v85, 16, v82
	;; [unrolled: 6-line block ×3, first 2 shown]
	s_waitcnt vmcnt(10)
	v_mul_f16_sdwa v86, v85, v89 dst_sel:DWORD dst_unused:UNUSED_PAD src0_sel:DWORD src1_sel:WORD_1
	v_pack_b32_f16 v33, v96, v33
	v_fma_f16 v86, v84, v89, -v86
	v_mul_f16_sdwa v84, v84, v89 dst_sel:DWORD dst_unused:UNUSED_PAD src0_sel:DWORD src1_sel:WORD_1
	ds_write_b32 v38, v33 offset:768
	v_pack_b32_f16 v33, v88, v34
	v_fma_f16 v84, v85, v89, v84
	ds_write_b32 v38, v33 offset:896
	v_pack_b32_f16 v33, v87, v82
	ds_write_b32 v38, v33 offset:1024
	v_pack_b32_f16 v33, v86, v84
	ds_write_b32 v38, v33 offset:1152
	ds_read_b32 v33, v43 offset:64
	ds_read_b32 v34, v43 offset:192
	s_waitcnt lgkmcnt(1)
	v_lshrrev_b32_e32 v82, 16, v33
	s_waitcnt vmcnt(3)
	v_mul_f16_sdwa v84, v82, v99 dst_sel:DWORD dst_unused:UNUSED_PAD src0_sel:DWORD src1_sel:WORD_1
	v_fma_f16 v84, v33, v99, -v84
	v_mul_f16_sdwa v33, v33, v99 dst_sel:DWORD dst_unused:UNUSED_PAD src0_sel:DWORD src1_sel:WORD_1
	v_fma_f16 v33, v82, v99, v33
	s_waitcnt lgkmcnt(0)
	v_lshrrev_b32_e32 v82, 16, v34
	v_mul_f16_sdwa v85, v82, v94 dst_sel:DWORD dst_unused:UNUSED_PAD src0_sel:DWORD src1_sel:WORD_1
	v_fma_f16 v85, v34, v94, -v85
	v_mul_f16_sdwa v34, v34, v94 dst_sel:DWORD dst_unused:UNUSED_PAD src0_sel:DWORD src1_sel:WORD_1
	v_fma_f16 v34, v82, v94, v34
	v_pack_b32_f16 v33, v84, v33
	ds_write_b32 v43, v33 offset:64
	v_pack_b32_f16 v33, v85, v34
	ds_write_b32 v43, v33 offset:192
	ds_read2_b32 v[33:34], v38 offset0:80 offset1:112
	ds_read_b32 v86, v38 offset:576
	s_waitcnt lgkmcnt(1)
	v_lshrrev_b32_e32 v82, 16, v33
	v_mul_f16_sdwa v84, v33, v91 dst_sel:DWORD dst_unused:UNUSED_PAD src0_sel:DWORD src1_sel:WORD_1
	v_fma_f16 v84, v82, v91, v84
	v_mul_f16_sdwa v82, v82, v91 dst_sel:DWORD dst_unused:UNUSED_PAD src0_sel:DWORD src1_sel:WORD_1
	v_fma_f16 v33, v33, v91, -v82
	v_lshrrev_b32_e32 v82, 16, v34
	v_mul_f16_sdwa v85, v82, v90 dst_sel:DWORD dst_unused:UNUSED_PAD src0_sel:DWORD src1_sel:WORD_1
	v_fma_f16 v85, v34, v90, -v85
	v_mul_f16_sdwa v34, v34, v90 dst_sel:DWORD dst_unused:UNUSED_PAD src0_sel:DWORD src1_sel:WORD_1
	v_fma_f16 v34, v82, v90, v34
	v_pack_b32_f16 v33, v33, v84
	v_pack_b32_f16 v34, v85, v34
	ds_write2_b32 v38, v33, v34 offset0:80 offset1:112
	s_waitcnt lgkmcnt(1)
	v_lshrrev_b32_e32 v33, 16, v86
	s_waitcnt vmcnt(2)
	v_mul_f16_sdwa v34, v33, v83 dst_sel:DWORD dst_unused:UNUSED_PAD src0_sel:DWORD src1_sel:WORD_1
	v_mul_f16_sdwa v82, v86, v83 dst_sel:DWORD dst_unused:UNUSED_PAD src0_sel:DWORD src1_sel:WORD_1
	v_fma_f16 v34, v86, v83, -v34
	v_fma_f16 v33, v33, v83, v82
	v_pack_b32_f16 v33, v34, v33
	ds_write_b32 v38, v33 offset:576
	ds_read_b32 v33, v43 offset:704
	s_waitcnt lgkmcnt(0)
	v_lshrrev_b32_e32 v34, 16, v33
	v_mul_f16_sdwa v82, v34, v95 dst_sel:DWORD dst_unused:UNUSED_PAD src0_sel:DWORD src1_sel:WORD_1
	v_fma_f16 v82, v33, v95, -v82
	v_mul_f16_sdwa v33, v33, v95 dst_sel:DWORD dst_unused:UNUSED_PAD src0_sel:DWORD src1_sel:WORD_1
	v_fma_f16 v33, v34, v95, v33
	v_pack_b32_f16 v33, v82, v33
	ds_write_b32 v43, v33 offset:704
	ds_read_b32 v33, v38 offset:832
	ds_read_b32 v34, v38 offset:960
	;; [unrolled: 1-line block ×4, first 2 shown]
	s_waitcnt lgkmcnt(3)
	v_lshrrev_b32_e32 v84, 16, v33
	s_waitcnt vmcnt(1)
	v_mul_f16_sdwa v85, v84, v36 dst_sel:DWORD dst_unused:UNUSED_PAD src0_sel:DWORD src1_sel:WORD_1
	v_fma_f16 v85, v33, v36, -v85
	v_mul_f16_sdwa v33, v33, v36 dst_sel:DWORD dst_unused:UNUSED_PAD src0_sel:DWORD src1_sel:WORD_1
	v_fma_f16 v33, v84, v36, v33
	s_waitcnt lgkmcnt(2)
	v_lshrrev_b32_e32 v36, 16, v34
	v_mul_f16_sdwa v84, v36, v92 dst_sel:DWORD dst_unused:UNUSED_PAD src0_sel:DWORD src1_sel:WORD_1
	v_fma_f16 v84, v34, v92, -v84
	v_mul_f16_sdwa v34, v34, v92 dst_sel:DWORD dst_unused:UNUSED_PAD src0_sel:DWORD src1_sel:WORD_1
	v_fma_f16 v34, v36, v92, v34
	s_waitcnt lgkmcnt(1)
	v_lshrrev_b32_e32 v36, 16, v82
	s_waitcnt vmcnt(0)
	v_mul_f16_sdwa v86, v36, v35 dst_sel:DWORD dst_unused:UNUSED_PAD src0_sel:DWORD src1_sel:WORD_1
	v_fma_f16 v86, v82, v35, -v86
	v_mul_f16_sdwa v82, v82, v35 dst_sel:DWORD dst_unused:UNUSED_PAD src0_sel:DWORD src1_sel:WORD_1
	v_fma_f16 v35, v36, v35, v82
	s_waitcnt lgkmcnt(0)
	v_lshrrev_b32_e32 v36, 16, v83
	v_mul_f16_sdwa v82, v36, v93 dst_sel:DWORD dst_unused:UNUSED_PAD src0_sel:DWORD src1_sel:WORD_1
	v_pack_b32_f16 v33, v85, v33
	v_fma_f16 v82, v83, v93, -v82
	v_mul_f16_sdwa v83, v83, v93 dst_sel:DWORD dst_unused:UNUSED_PAD src0_sel:DWORD src1_sel:WORD_1
	ds_write_b32 v38, v33 offset:832
	v_pack_b32_f16 v33, v84, v34
	v_fma_f16 v36, v36, v93, v83
	ds_write_b32 v38, v33 offset:960
	v_pack_b32_f16 v33, v86, v35
	ds_write_b32 v38, v33 offset:1088
	v_pack_b32_f16 v33, v82, v36
	ds_write_b32 v38, v33 offset:1216
	s_waitcnt lgkmcnt(0)
	; wave barrier
	s_waitcnt lgkmcnt(0)
	ds_read2_b32 v[35:36], v38 offset0:144 offset1:192
	ds_read2_b32 v[33:34], v63 offset0:112 offset1:128
	;; [unrolled: 1-line block ×4, first 2 shown]
	ds_read2_b32 v[86:87], v43 offset1:16
	s_waitcnt lgkmcnt(3)
	v_sub_f16_e32 v88, v36, v34
	s_waitcnt lgkmcnt(2)
	v_sub_f16_sdwa v96, v82, v34 dst_sel:DWORD dst_unused:UNUSED_PAD src0_sel:WORD_1 src1_sel:WORD_1
	s_waitcnt lgkmcnt(1)
	v_sub_f16_e32 v89, v84, v82
	v_add_f16_e32 v88, v89, v88
	v_add_f16_e32 v89, v82, v34
	s_waitcnt lgkmcnt(0)
	v_fma_f16 v89, v89, -0.5, v86
	v_sub_f16_sdwa v97, v84, v36 dst_sel:DWORD dst_unused:UNUSED_PAD src0_sel:WORD_1 src1_sel:WORD_1
	v_fma_f16 v90, v97, s13, v89
	v_fma_f16 v89, v97, s15, v89
	;; [unrolled: 1-line block ×6, first 2 shown]
	v_sub_f16_sdwa v88, v84, v82 dst_sel:DWORD dst_unused:UNUSED_PAD src0_sel:WORD_1 src1_sel:WORD_1
	v_sub_f16_sdwa v89, v36, v34 dst_sel:DWORD dst_unused:UNUSED_PAD src0_sel:WORD_1 src1_sel:WORD_1
	v_add_f16_e32 v92, v88, v89
	v_lshrrev_b32_e32 v100, 16, v86
	v_add_f16_sdwa v88, v82, v34 dst_sel:DWORD dst_unused:UNUSED_PAD src0_sel:WORD_1 src1_sel:WORD_1
	v_fma_f16 v93, v88, -0.5, v100
	v_sub_f16_e32 v102, v84, v36
	v_sub_f16_e32 v101, v82, v34
	v_fma_f16 v88, v102, s15, v93
	v_fma_f16 v88, v101, s12, v88
	;; [unrolled: 1-line block ×3, first 2 shown]
	ds_read2_b32 v[88:89], v38 offset0:208 offset1:224
	ds_read2_b32 v[90:91], v55 offset0:16 offset1:32
	v_fma_f16 v93, v102, s13, v93
	v_fma_f16 v93, v101, s16, v93
	;; [unrolled: 1-line block ×3, first 2 shown]
	ds_read2_b32 v[92:93], v43 offset0:32 offset1:48
	s_waitcnt lgkmcnt(1)
	v_sub_f16_e32 v94, v89, v91
	v_sub_f16_e32 v95, v85, v83
	v_add_f16_e32 v94, v95, v94
	v_add_f16_e32 v95, v83, v91
	s_waitcnt lgkmcnt(0)
	v_fma_f16 v95, v95, -0.5, v92
	v_sub_f16_sdwa v106, v85, v89 dst_sel:DWORD dst_unused:UNUSED_PAD src0_sel:WORD_1 src1_sel:WORD_1
	v_sub_f16_sdwa v105, v83, v91 dst_sel:DWORD dst_unused:UNUSED_PAD src0_sel:WORD_1 src1_sel:WORD_1
	v_fma_f16 v107, v106, s13, v95
	v_fma_f16 v95, v106, s15, v95
	v_fma_f16 v107, v105, s16, v107
	v_fma_f16 v95, v105, s12, v95
	v_fma_f16 v107, v94, s14, v107
	v_fma_f16 v94, v94, s14, v95
	v_sub_f16_sdwa v95, v85, v83 dst_sel:DWORD dst_unused:UNUSED_PAD src0_sel:WORD_1 src1_sel:WORD_1
	v_sub_f16_sdwa v108, v89, v91 dst_sel:DWORD dst_unused:UNUSED_PAD src0_sel:WORD_1 src1_sel:WORD_1
	v_add_f16_e32 v95, v95, v108
	v_lshrrev_b32_e32 v108, 16, v92
	v_add_f16_sdwa v109, v83, v91 dst_sel:DWORD dst_unused:UNUSED_PAD src0_sel:WORD_1 src1_sel:WORD_1
	v_fma_f16 v109, v109, -0.5, v108
	v_sub_f16_e32 v111, v85, v89
	v_sub_f16_e32 v110, v83, v91
	v_fma_f16 v112, v111, s15, v109
	v_fma_f16 v112, v110, s12, v112
	;; [unrolled: 1-line block ×6, first 2 shown]
	v_mul_f16_e32 v109, 0xbb9c, v112
	v_mul_f16_e32 v112, 0x34f2, v112
	v_fma_f16 v109, v107, s14, v109
	v_fma_f16 v107, v107, s13, v112
	v_mul_f16_e32 v112, 0xbb9c, v95
	v_mul_f16_e32 v95, 0xb4f2, v95
	v_fma_f16 v112, v94, s0, v112
	v_fma_f16 v113, v94, s13, v95
	v_add_f16_e32 v94, v99, v112
	v_add_f16_e32 v95, v104, v113
	v_pack_b32_f16 v95, v94, v95
	v_add_f16_e32 v94, v98, v109
	v_add_f16_e32 v114, v103, v107
	v_pack_b32_f16 v94, v94, v114
	v_sub_f16_e32 v114, v34, v36
	v_sub_f16_e32 v115, v82, v84
	v_add_f16_e32 v114, v115, v114
	v_add_f16_sdwa v115, v84, v36 dst_sel:DWORD dst_unused:UNUSED_PAD src0_sel:WORD_1 src1_sel:WORD_1
	v_fma_f16 v100, v115, -0.5, v100
	v_sub_f16_sdwa v115, v82, v84 dst_sel:DWORD dst_unused:UNUSED_PAD src0_sel:WORD_1 src1_sel:WORD_1
	v_sub_f16_sdwa v116, v34, v36 dst_sel:DWORD dst_unused:UNUSED_PAD src0_sel:WORD_1 src1_sel:WORD_1
	v_add_f16_e32 v115, v115, v116
	v_sub_f16_e32 v116, v91, v89
	v_sub_f16_e32 v117, v83, v85
	v_add_f16_e32 v116, v117, v116
	v_pk_add_f16 v117, v92, v83
	v_sub_f16_sdwa v83, v83, v85 dst_sel:DWORD dst_unused:UNUSED_PAD src0_sel:WORD_1 src1_sel:WORD_1
	v_pk_add_f16 v117, v117, v85
	v_add_f16_e32 v118, v85, v89
	v_add_f16_sdwa v85, v85, v89 dst_sel:DWORD dst_unused:UNUSED_PAD src0_sel:WORD_1 src1_sel:WORD_1
	v_fma_f16 v108, v85, -0.5, v108
	v_sub_f16_sdwa v85, v91, v89 dst_sel:DWORD dst_unused:UNUSED_PAD src0_sel:WORD_1 src1_sel:WORD_1
	v_add_f16_e32 v119, v83, v85
	v_fma_f16 v92, v118, -0.5, v92
	v_fma_f16 v85, v110, s13, v108
	v_fma_f16 v83, v105, s15, v92
	;; [unrolled: 1-line block ×3, first 2 shown]
	v_pk_add_f16 v82, v86, v82
	v_fma_f16 v83, v106, s16, v83
	v_fma_f16 v85, v119, s14, v85
	v_pk_add_f16 v82, v82, v84
	v_add_f16_e32 v84, v84, v36
	v_fma_f16 v83, v116, s14, v83
	v_mul_f16_e32 v118, 0xb8b4, v85
	v_fma_f16 v118, v83, s17, v118
	v_mul_f16_e32 v83, 0x38b4, v83
	v_fma_f16 v86, v84, -0.5, v86
	v_pk_add_f16 v36, v82, v36
	v_fma_f16 v120, v85, s17, v83
	v_fma_f16 v83, v96, s15, v86
	v_pk_add_f16 v34, v36, v34
	v_fma_f16 v36, v101, s13, v100
	v_fma_f16 v83, v97, s16, v83
	;; [unrolled: 1-line block ×5, first 2 shown]
	v_pk_add_f16 v82, v117, v89
	v_pk_add_f16 v89, v82, v91
	v_add_f16_e32 v82, v121, v118
	v_add_f16_e32 v83, v36, v120
	v_pack_b32_f16 v83, v82, v83
	v_pk_add_f16 v82, v34, v89
	ds_read_b32 v117, v43 offset:704
	ds_read_b32 v122, v38 offset:1216
	ds_read2_b32 v[84:85], v38 offset0:80 offset1:112
	s_waitcnt lgkmcnt(0)
	; wave barrier
	s_waitcnt lgkmcnt(0)
	ds_write2_b64 v64, v[82:83], v[94:95] offset1:1
	v_sub_f16_e32 v83, v98, v109
	v_sub_f16_e32 v91, v103, v107
	v_pack_b32_f16 v83, v83, v91
	v_fma_f16 v91, v105, s13, v92
	v_fma_f16 v92, v110, s15, v108
	v_sub_f16_e32 v82, v121, v118
	v_sub_f16_e32 v36, v36, v120
	v_fma_f16 v92, v111, s16, v92
	v_pack_b32_f16 v82, v82, v36
	v_fma_f16 v36, v96, s13, v86
	v_fma_f16 v86, v101, s15, v100
	;; [unrolled: 1-line block ×7, first 2 shown]
	v_mul_f16_e32 v94, 0xb8b4, v92
	v_mul_f16_e32 v92, 0xba79, v92
	v_fma_f16 v36, v114, s14, v36
	v_fma_f16 v86, v115, s14, v86
	;; [unrolled: 1-line block ×4, first 2 shown]
	v_pk_add_f16 v92, v34, v89 neg_lo:[0,1] neg_hi:[0,1]
	v_add_f16_e32 v34, v36, v94
	v_add_f16_e32 v89, v86, v95
	v_pack_b32_f16 v91, v34, v89
	ds_write2_b64 v64, v[91:92], v[82:83] offset0:2 offset1:3
	v_sub_f16_e32 v34, v99, v112
	v_sub_f16_e32 v36, v36, v94
	;; [unrolled: 1-line block ×4, first 2 shown]
	v_pack_b32_f16 v83, v36, v83
	v_pack_b32_f16 v82, v34, v82
	v_sub_f16_e32 v34, v88, v90
	v_sub_f16_e32 v36, v35, v84
	v_add_f16_e32 v34, v36, v34
	v_add_f16_e32 v36, v84, v90
	v_fma_f16 v36, v36, -0.5, v87
	v_sub_f16_sdwa v86, v35, v88 dst_sel:DWORD dst_unused:UNUSED_PAD src0_sel:WORD_1 src1_sel:WORD_1
	ds_write_b64 v64, v[82:83] offset:32
	v_sub_f16_sdwa v64, v84, v90 dst_sel:DWORD dst_unused:UNUSED_PAD src0_sel:WORD_1 src1_sel:WORD_1
	v_fma_f16 v82, v86, s13, v36
	v_fma_f16 v36, v86, s15, v36
	;; [unrolled: 1-line block ×6, first 2 shown]
	v_sub_f16_sdwa v34, v35, v84 dst_sel:DWORD dst_unused:UNUSED_PAD src0_sel:WORD_1 src1_sel:WORD_1
	v_sub_f16_sdwa v36, v88, v90 dst_sel:DWORD dst_unused:UNUSED_PAD src0_sel:WORD_1 src1_sel:WORD_1
	v_add_f16_e32 v34, v34, v36
	v_lshrrev_b32_e32 v36, 16, v87
	v_add_f16_sdwa v82, v84, v90 dst_sel:DWORD dst_unused:UNUSED_PAD src0_sel:WORD_1 src1_sel:WORD_1
	v_fma_f16 v82, v82, -0.5, v36
	v_sub_f16_e32 v94, v35, v88
	v_sub_f16_e32 v92, v84, v90
	v_fma_f16 v83, v94, s15, v82
	v_fma_f16 v82, v94, s13, v82
	;; [unrolled: 1-line block ×6, first 2 shown]
	v_sub_f16_e32 v34, v33, v122
	v_sub_f16_e32 v82, v117, v85
	v_add_f16_e32 v34, v82, v34
	v_add_f16_e32 v82, v85, v122
	v_fma_f16 v82, v82, -0.5, v93
	v_sub_f16_sdwa v98, v117, v33 dst_sel:DWORD dst_unused:UNUSED_PAD src0_sel:WORD_1 src1_sel:WORD_1
	v_sub_f16_sdwa v97, v85, v122 dst_sel:DWORD dst_unused:UNUSED_PAD src0_sel:WORD_1 src1_sel:WORD_1
	v_fma_f16 v83, v98, s13, v82
	v_fma_f16 v82, v98, s15, v82
	;; [unrolled: 1-line block ×6, first 2 shown]
	v_sub_f16_sdwa v82, v117, v85 dst_sel:DWORD dst_unused:UNUSED_PAD src0_sel:WORD_1 src1_sel:WORD_1
	v_sub_f16_sdwa v99, v33, v122 dst_sel:DWORD dst_unused:UNUSED_PAD src0_sel:WORD_1 src1_sel:WORD_1
	v_add_f16_e32 v82, v82, v99
	v_lshrrev_b32_e32 v99, 16, v93
	v_add_f16_sdwa v100, v85, v122 dst_sel:DWORD dst_unused:UNUSED_PAD src0_sel:WORD_1 src1_sel:WORD_1
	v_fma_f16 v100, v100, -0.5, v99
	v_sub_f16_e32 v102, v117, v33
	v_sub_f16_e32 v101, v85, v122
	v_fma_f16 v103, v102, s15, v100
	v_fma_f16 v103, v101, s12, v103
	;; [unrolled: 1-line block ×6, first 2 shown]
	v_mul_f16_e32 v100, 0xbb9c, v103
	v_mul_f16_e32 v103, 0x34f2, v103
	v_fma_f16 v100, v83, s14, v100
	v_fma_f16 v103, v83, s13, v103
	v_mul_f16_e32 v83, 0xbb9c, v82
	v_mul_f16_e32 v82, 0xb4f2, v82
	v_fma_f16 v104, v34, s0, v83
	v_fma_f16 v105, v34, s13, v82
	v_add_f16_e32 v34, v91, v104
	v_add_f16_e32 v82, v96, v105
	v_pack_b32_f16 v83, v34, v82
	v_add_f16_e32 v34, v89, v100
	v_add_f16_e32 v82, v95, v103
	v_pack_b32_f16 v82, v34, v82
	v_sub_f16_e32 v34, v90, v88
	v_sub_f16_e32 v106, v84, v35
	v_add_f16_e32 v106, v106, v34
	v_add_f16_e32 v34, v35, v88
	v_fma_f16 v107, v34, -0.5, v87
	v_pk_add_f16 v34, v87, v84
	v_pk_add_f16 v34, v34, v35
	;; [unrolled: 1-line block ×4, first 2 shown]
	v_sub_f16_sdwa v34, v90, v88 dst_sel:DWORD dst_unused:UNUSED_PAD src0_sel:WORD_1 src1_sel:WORD_1
	v_add_f16_sdwa v88, v35, v88 dst_sel:DWORD dst_unused:UNUSED_PAD src0_sel:WORD_1 src1_sel:WORD_1
	v_sub_f16_sdwa v35, v84, v35 dst_sel:DWORD dst_unused:UNUSED_PAD src0_sel:WORD_1 src1_sel:WORD_1
	v_add_f16_e32 v35, v35, v34
	v_sub_f16_e32 v34, v122, v33
	v_sub_f16_e32 v84, v85, v117
	v_add_f16_e32 v84, v84, v34
	v_add_f16_e32 v34, v117, v33
	v_fma_f16 v36, v88, -0.5, v36
	v_fma_f16 v88, v34, -0.5, v93
	v_pk_add_f16 v34, v93, v85
	v_pk_add_f16 v34, v34, v117
	v_add_f16_sdwa v90, v117, v33 dst_sel:DWORD dst_unused:UNUSED_PAD src0_sel:WORD_1 src1_sel:WORD_1
	v_pk_add_f16 v34, v34, v33
	v_fma_f16 v90, v90, -0.5, v99
	v_sub_f16_sdwa v85, v85, v117 dst_sel:DWORD dst_unused:UNUSED_PAD src0_sel:WORD_1 src1_sel:WORD_1
	v_sub_f16_sdwa v33, v122, v33 dst_sel:DWORD dst_unused:UNUSED_PAD src0_sel:WORD_1 src1_sel:WORD_1
	v_pk_add_f16 v93, v34, v122
	v_fma_f16 v34, v101, s13, v90
	v_add_f16_e32 v85, v85, v33
	v_fma_f16 v33, v97, s15, v88
	v_fma_f16 v34, v102, s12, v34
	;; [unrolled: 1-line block ×5, first 2 shown]
	v_mul_f16_e32 v99, 0xb8b4, v34
	v_fma_f16 v99, v33, s17, v99
	v_mul_f16_e32 v33, 0x38b4, v33
	v_fma_f16 v108, v34, s17, v33
	v_fma_f16 v33, v64, s15, v107
	;; [unrolled: 1-line block ×7, first 2 shown]
	v_add_f16_e32 v33, v109, v99
	v_add_f16_e32 v34, v110, v108
	v_pack_b32_f16 v34, v33, v34
	v_pk_add_f16 v33, v87, v93
	v_fma_f16 v36, v92, s15, v36
	ds_write2_b64 v65, v[33:34], v[82:83] offset1:1
	v_sub_f16_e32 v33, v109, v99
	v_sub_f16_e32 v82, v110, v108
	v_fma_f16 v36, v94, s16, v36
	v_pack_b32_f16 v33, v33, v82
	v_fma_f16 v82, v35, s14, v36
	v_fma_f16 v36, v101, s15, v90
	;; [unrolled: 1-line block ×4, first 2 shown]
	v_sub_f16_e32 v34, v89, v100
	v_sub_f16_e32 v83, v95, v103
	v_fma_f16 v64, v64, s13, v107
	v_fma_f16 v35, v98, s12, v35
	;; [unrolled: 1-line block ×3, first 2 shown]
	v_pack_b32_f16 v34, v34, v83
	v_fma_f16 v64, v86, s12, v64
	v_fma_f16 v35, v84, s14, v35
	v_mul_f16_e32 v83, 0xb8b4, v36
	v_mul_f16_e32 v36, 0xba79, v36
	v_fma_f16 v64, v106, s14, v64
	v_fma_f16 v83, v35, s1, v83
	;; [unrolled: 1-line block ×3, first 2 shown]
	v_add_f16_e32 v35, v64, v83
	v_add_f16_e32 v85, v82, v84
	v_pk_add_f16 v36, v87, v93 neg_lo:[0,1] neg_hi:[0,1]
	v_pack_b32_f16 v35, v35, v85
	ds_write2_b64 v65, v[35:36], v[33:34] offset0:2 offset1:3
	v_sub_f16_e32 v33, v91, v104
	v_sub_f16_e32 v34, v64, v83
	;; [unrolled: 1-line block ×4, first 2 shown]
	v_pack_b32_f16 v34, v34, v36
	v_pack_b32_f16 v33, v33, v35
	ds_write_b64 v65, v[33:34] offset:32
	s_waitcnt lgkmcnt(0)
	; wave barrier
	s_waitcnt lgkmcnt(0)
	ds_read2_b32 v[33:34], v43 offset0:96 offset1:112
	ds_read2_b32 v[35:36], v43 offset0:160 offset1:176
	s_waitcnt lgkmcnt(1)
	v_lshrrev_b32_e32 v64, 16, v33
	v_mul_f16_sdwa v65, v4, v33 dst_sel:DWORD dst_unused:UNUSED_PAD src0_sel:WORD_1 src1_sel:DWORD
	v_fma_f16 v82, v4, v64, -v65
	v_mul_f16_sdwa v64, v4, v64 dst_sel:DWORD dst_unused:UNUSED_PAD src0_sel:WORD_1 src1_sel:DWORD
	v_fma_f16 v33, v4, v33, v64
	ds_read2_b32 v[64:65], v62 offset1:16
	s_waitcnt lgkmcnt(1)
	v_lshrrev_b32_e32 v4, 16, v36
	v_mul_f16_sdwa v83, v5, v36 dst_sel:DWORD dst_unused:UNUSED_PAD src0_sel:WORD_1 src1_sel:DWORD
	v_fma_f16 v83, v5, v4, -v83
	v_mul_f16_sdwa v4, v5, v4 dst_sel:DWORD dst_unused:UNUSED_PAD src0_sel:WORD_1 src1_sel:DWORD
	v_fma_f16 v36, v5, v36, v4
	s_waitcnt lgkmcnt(0)
	v_lshrrev_b32_e32 v4, 16, v64
	v_mul_f16_sdwa v5, v6, v64 dst_sel:DWORD dst_unused:UNUSED_PAD src0_sel:WORD_1 src1_sel:DWORD
	v_fma_f16 v84, v6, v4, -v5
	v_mul_f16_sdwa v4, v6, v4 dst_sel:DWORD dst_unused:UNUSED_PAD src0_sel:WORD_1 src1_sel:DWORD
	v_fma_f16 v64, v6, v64, v4
	v_lshrrev_b32_e32 v4, 16, v34
	v_mul_f16_sdwa v5, v7, v4 dst_sel:DWORD dst_unused:UNUSED_PAD src0_sel:WORD_1 src1_sel:DWORD
	v_fma_f16 v85, v7, v34, v5
	v_mul_f16_sdwa v5, v7, v34 dst_sel:DWORD dst_unused:UNUSED_PAD src0_sel:WORD_1 src1_sel:DWORD
	v_fma_f16 v34, v7, v4, -v5
	ds_read2_b32 v[4:5], v43 offset0:192 offset1:208
	v_lshrrev_b32_e32 v6, 16, v65
	v_mul_f16_sdwa v7, v9, v6 dst_sel:DWORD dst_unused:UNUSED_PAD src0_sel:WORD_1 src1_sel:DWORD
	v_fma_f16 v86, v9, v65, v7
	v_mul_f16_sdwa v7, v9, v65 dst_sel:DWORD dst_unused:UNUSED_PAD src0_sel:WORD_1 src1_sel:DWORD
	v_fma_f16 v9, v9, v6, -v7
	s_waitcnt lgkmcnt(0)
	v_lshrrev_b32_e32 v6, 16, v4
	v_mul_f16_sdwa v7, v8, v4 dst_sel:DWORD dst_unused:UNUSED_PAD src0_sel:WORD_1 src1_sel:DWORD
	v_fma_f16 v65, v8, v6, -v7
	v_mul_f16_sdwa v6, v8, v6 dst_sel:DWORD dst_unused:UNUSED_PAD src0_sel:WORD_1 src1_sel:DWORD
	v_fma_f16 v8, v8, v4, v6
	v_lshrrev_b32_e32 v4, 16, v5
	ds_read2_b32 v[6:7], v43 offset0:128 offset1:144
	v_mul_f16_sdwa v87, v20, v4 dst_sel:DWORD dst_unused:UNUSED_PAD src0_sel:WORD_1 src1_sel:DWORD
	v_fma_f16 v87, v20, v5, v87
	v_mul_f16_sdwa v5, v20, v5 dst_sel:DWORD dst_unused:UNUSED_PAD src0_sel:WORD_1 src1_sel:DWORD
	v_fma_f16 v20, v20, v4, -v5
	ds_read2_b32 v[4:5], v62 offset0:32 offset1:48
	s_waitcnt lgkmcnt(1)
	v_lshrrev_b32_e32 v88, 16, v6
	v_mul_f16_sdwa v89, v19, v6 dst_sel:DWORD dst_unused:UNUSED_PAD src0_sel:WORD_1 src1_sel:DWORD
	v_fma_f16 v89, v19, v88, -v89
	v_mul_f16_sdwa v88, v19, v88 dst_sel:DWORD dst_unused:UNUSED_PAD src0_sel:WORD_1 src1_sel:DWORD
	v_fma_f16 v19, v19, v6, v88
	s_waitcnt lgkmcnt(0)
	v_lshrrev_b32_e32 v6, 16, v4
	v_mul_f16_sdwa v88, v21, v4 dst_sel:DWORD dst_unused:UNUSED_PAD src0_sel:WORD_1 src1_sel:DWORD
	v_fma_f16 v88, v21, v6, -v88
	v_mul_f16_sdwa v6, v21, v6 dst_sel:DWORD dst_unused:UNUSED_PAD src0_sel:WORD_1 src1_sel:DWORD
	v_fma_f16 v21, v21, v4, v6
	v_lshrrev_b32_e32 v4, 16, v7
	v_mul_f16_sdwa v6, v16, v4 dst_sel:DWORD dst_unused:UNUSED_PAD src0_sel:WORD_1 src1_sel:DWORD
	v_fma_f16 v90, v16, v7, v6
	v_mul_f16_sdwa v6, v16, v7 dst_sel:DWORD dst_unused:UNUSED_PAD src0_sel:WORD_1 src1_sel:DWORD
	v_fma_f16 v16, v16, v4, -v6
	ds_read2_b32 v[6:7], v43 offset0:224 offset1:240
	v_lshrrev_b32_e32 v4, 16, v5
	v_mul_f16_sdwa v91, v18, v4 dst_sel:DWORD dst_unused:UNUSED_PAD src0_sel:WORD_1 src1_sel:DWORD
	v_fma_f16 v91, v18, v5, v91
	v_mul_f16_sdwa v5, v18, v5 dst_sel:DWORD dst_unused:UNUSED_PAD src0_sel:WORD_1 src1_sel:DWORD
	v_fma_f16 v18, v18, v4, -v5
	s_waitcnt lgkmcnt(0)
	v_lshrrev_b32_e32 v4, 16, v6
	v_mul_f16_sdwa v5, v17, v6 dst_sel:DWORD dst_unused:UNUSED_PAD src0_sel:WORD_1 src1_sel:DWORD
	v_fma_f16 v92, v17, v4, -v5
	v_mul_f16_sdwa v4, v17, v4 dst_sel:DWORD dst_unused:UNUSED_PAD src0_sel:WORD_1 src1_sel:DWORD
	v_fma_f16 v6, v17, v6, v4
	v_lshrrev_b32_e32 v4, 16, v35
	v_mul_f16_sdwa v5, v2, v4 dst_sel:DWORD dst_unused:UNUSED_PAD src0_sel:WORD_1 src1_sel:DWORD
	v_fma_f16 v17, v2, v35, v5
	v_mul_f16_sdwa v5, v2, v35 dst_sel:DWORD dst_unused:UNUSED_PAD src0_sel:WORD_1 src1_sel:DWORD
	v_fma_f16 v35, v2, v4, -v5
	v_lshrrev_b32_e32 v2, 16, v7
	ds_read2_b32 v[4:5], v43 offset0:64 offset1:80
	v_mul_f16_sdwa v93, v3, v2 dst_sel:DWORD dst_unused:UNUSED_PAD src0_sel:WORD_1 src1_sel:DWORD
	v_fma_f16 v93, v3, v7, v93
	v_mul_f16_sdwa v7, v3, v7 dst_sel:DWORD dst_unused:UNUSED_PAD src0_sel:WORD_1 src1_sel:DWORD
	v_fma_f16 v7, v3, v2, -v7
	ds_read2_b32 v[2:3], v43 offset1:16
	s_waitcnt lgkmcnt(1)
	v_lshrrev_b32_e32 v94, 16, v5
	v_mul_f16_sdwa v95, v1, v5 dst_sel:DWORD dst_unused:UNUSED_PAD src0_sel:WORD_1 src1_sel:DWORD
	v_fma_f16 v95, v1, v94, -v95
	v_mul_f16_sdwa v94, v1, v94 dst_sel:DWORD dst_unused:UNUSED_PAD src0_sel:WORD_1 src1_sel:DWORD
	v_fma_f16 v1, v1, v5, v94
	s_waitcnt lgkmcnt(0)
	v_sub_f16_e32 v5, v2, v17
	v_lshrrev_b32_e32 v17, 16, v2
	v_sub_f16_e32 v35, v17, v35
	v_sub_f16_e32 v93, v1, v93
	;; [unrolled: 1-line block ×3, first 2 shown]
	v_fma_f16 v17, v17, 2.0, -v35
	v_fma_f16 v1, v1, 2.0, -v93
	;; [unrolled: 1-line block ×4, first 2 shown]
	v_sub_f16_e32 v95, v2, v1
	v_sub_f16_e32 v94, v17, v94
	v_fma_f16 v1, v2, 2.0, -v95
	v_fma_f16 v2, v17, 2.0, -v94
	v_add_f16_e32 v7, v5, v7
	v_sub_f16_e32 v93, v35, v93
	v_pack_b32_f16 v17, v1, v2
	v_fma_f16 v1, v5, 2.0, -v7
	v_fma_f16 v2, v35, 2.0, -v93
	v_pack_b32_f16 v5, v1, v2
	ds_read2_b32 v[1:2], v43 offset0:32 offset1:48
	s_waitcnt lgkmcnt(0)
	; wave barrier
	s_waitcnt lgkmcnt(0)
	ds_write2_b32 v66, v17, v5 offset1:10
	v_pack_b32_f16 v5, v95, v94
	v_pack_b32_f16 v7, v7, v93
	ds_write2_b32 v66, v5, v7 offset0:20 offset1:30
	v_lshrrev_b32_e32 v7, 16, v3
	v_sub_f16_e32 v5, v3, v36
	v_sub_f16_e32 v17, v7, v83
	;; [unrolled: 1-line block ×4, first 2 shown]
	v_fma_f16 v3, v3, 2.0, -v5
	v_fma_f16 v7, v7, 2.0, -v17
	v_fma_f16 v33, v33, 2.0, -v35
	v_fma_f16 v64, v82, 2.0, -v36
	v_sub_f16_e32 v33, v3, v33
	v_sub_f16_e32 v64, v7, v64
	v_fma_f16 v3, v3, 2.0, -v33
	v_fma_f16 v7, v7, 2.0, -v64
	v_pack_b32_f16 v3, v3, v7
	v_add_f16_e32 v7, v5, v36
	v_sub_f16_e32 v35, v17, v35
	v_fma_f16 v5, v5, 2.0, -v7
	v_fma_f16 v17, v17, 2.0, -v35
	v_pack_b32_f16 v5, v5, v17
	ds_write2_b32 v67, v3, v5 offset1:10
	v_pack_b32_f16 v3, v33, v64
	v_pack_b32_f16 v5, v7, v35
	ds_write2_b32 v67, v3, v5 offset0:20 offset1:30
	v_lshrrev_b32_e32 v5, 16, v1
	v_sub_f16_e32 v3, v1, v8
	v_sub_f16_e32 v7, v5, v65
	;; [unrolled: 1-line block ×4, first 2 shown]
	v_fma_f16 v5, v5, 2.0, -v7
	v_fma_f16 v17, v85, 2.0, -v8
	;; [unrolled: 1-line block ×4, first 2 shown]
	v_sub_f16_e32 v17, v1, v17
	v_sub_f16_e32 v33, v5, v33
	v_fma_f16 v1, v1, 2.0, -v17
	v_fma_f16 v5, v5, 2.0, -v33
	v_pack_b32_f16 v1, v1, v5
	v_add_f16_e32 v5, v3, v9
	v_sub_f16_e32 v8, v7, v8
	v_fma_f16 v3, v3, 2.0, -v5
	v_fma_f16 v7, v7, 2.0, -v8
	v_pack_b32_f16 v3, v3, v7
	ds_write2_b32 v0, v1, v3 offset1:10
	v_lshrrev_b32_e32 v3, 16, v2
	v_sub_f16_e32 v1, v2, v87
	v_pack_b32_f16 v9, v17, v33
	v_sub_f16_e32 v17, v3, v20
	v_sub_f16_e32 v20, v19, v21
	;; [unrolled: 1-line block ×3, first 2 shown]
	v_fma_f16 v2, v2, 2.0, -v1
	v_lshrrev_b32_e32 v7, 16, v4
	v_fma_f16 v3, v3, 2.0, -v17
	v_fma_f16 v19, v19, 2.0, -v20
	;; [unrolled: 1-line block ×3, first 2 shown]
	v_sub_f16_e32 v6, v4, v6
	v_sub_f16_e32 v19, v2, v19
	;; [unrolled: 1-line block ×3, first 2 shown]
	v_add_f16_e32 v21, v1, v21
	v_sub_f16_e32 v20, v17, v20
	v_sub_f16_e32 v34, v7, v92
	;; [unrolled: 1-line block ×4, first 2 shown]
	v_fma_f16 v4, v4, 2.0, -v6
	v_fma_f16 v2, v2, 2.0, -v19
	;; [unrolled: 1-line block ×8, first 2 shown]
	v_pack_b32_f16 v5, v5, v8
	v_sub_f16_e32 v36, v4, v36
	v_sub_f16_e32 v16, v7, v16
	v_add_f16_e32 v18, v6, v18
	v_sub_f16_e32 v35, v34, v35
	ds_write2_b32 v0, v9, v5 offset0:20 offset1:30
	v_pack_b32_f16 v0, v2, v3
	v_pack_b32_f16 v1, v1, v17
	v_fma_f16 v4, v4, 2.0, -v36
	v_fma_f16 v7, v7, 2.0, -v16
	;; [unrolled: 1-line block ×4, first 2 shown]
	ds_write2_b32 v74, v0, v1 offset1:10
	v_pack_b32_f16 v0, v19, v33
	v_pack_b32_f16 v1, v21, v20
	ds_write2_b32 v74, v0, v1 offset0:20 offset1:30
	v_pack_b32_f16 v0, v4, v7
	v_pack_b32_f16 v1, v6, v34
	ds_write2_b32 v78, v0, v1 offset1:10
	v_pack_b32_f16 v0, v36, v16
	v_pack_b32_f16 v1, v18, v35
	ds_write2_b32 v78, v0, v1 offset0:20 offset1:30
	s_waitcnt lgkmcnt(0)
	; wave barrier
	s_waitcnt lgkmcnt(0)
	ds_read2_b32 v[0:1], v43 offset1:16
	ds_read2_b32 v[2:3], v43 offset0:96 offset1:112
	ds_read2_b32 v[4:5], v43 offset0:160 offset1:176
	ds_read2_b32 v[6:7], v62 offset1:16
	ds_read2_b32 v[8:9], v43 offset0:224 offset1:240
	ds_read2_b32 v[16:17], v43 offset0:192 offset1:208
	s_waitcnt lgkmcnt(4)
	v_lshrrev_b32_e32 v20, 16, v2
	v_mul_f16_sdwa v36, v22, v20 dst_sel:DWORD dst_unused:UNUSED_PAD src0_sel:WORD_1 src1_sel:DWORD
	s_waitcnt lgkmcnt(3)
	v_lshrrev_b32_e32 v21, 16, v5
	v_fma_f16 v36, v22, v2, v36
	v_mul_f16_sdwa v2, v22, v2 dst_sel:DWORD dst_unused:UNUSED_PAD src0_sel:WORD_1 src1_sel:DWORD
	v_fma_f16 v20, v22, v20, -v2
	v_mul_f16_sdwa v2, v23, v21 dst_sel:DWORD dst_unused:UNUSED_PAD src0_sel:WORD_1 src1_sel:DWORD
	v_fma_f16 v22, v23, v5, v2
	v_mul_f16_sdwa v2, v23, v5 dst_sel:DWORD dst_unused:UNUSED_PAD src0_sel:WORD_1 src1_sel:DWORD
	s_waitcnt lgkmcnt(2)
	v_lshrrev_b32_e32 v33, 16, v6
	v_fma_f16 v5, v23, v21, -v2
	v_mul_f16_sdwa v2, v24, v6 dst_sel:DWORD dst_unused:UNUSED_PAD src0_sel:WORD_1 src1_sel:DWORD
	v_lshrrev_b32_e32 v34, 16, v3
	v_fma_f16 v21, v24, v33, -v2
	v_mul_f16_sdwa v2, v24, v33 dst_sel:DWORD dst_unused:UNUSED_PAD src0_sel:WORD_1 src1_sel:DWORD
	v_fma_f16 v6, v24, v6, v2
	v_mul_f16_sdwa v2, v28, v34 dst_sel:DWORD dst_unused:UNUSED_PAD src0_sel:WORD_1 src1_sel:DWORD
	v_lshrrev_b32_e32 v23, 16, v7
	v_fma_f16 v33, v28, v3, v2
	v_mul_f16_sdwa v2, v28, v3 dst_sel:DWORD dst_unused:UNUSED_PAD src0_sel:WORD_1 src1_sel:DWORD
	ds_read2_b32 v[18:19], v43 offset0:128 offset1:144
	v_fma_f16 v28, v28, v34, -v2
	v_mul_f16_sdwa v2, v30, v23 dst_sel:DWORD dst_unused:UNUSED_PAD src0_sel:WORD_1 src1_sel:DWORD
	v_fma_f16 v34, v30, v7, v2
	ds_read2_b32 v[2:3], v62 offset0:32 offset1:48
	s_waitcnt lgkmcnt(2)
	v_lshrrev_b32_e32 v35, 16, v16
	v_mul_f16_sdwa v7, v30, v7 dst_sel:DWORD dst_unused:UNUSED_PAD src0_sel:WORD_1 src1_sel:DWORD
	v_fma_f16 v7, v30, v23, -v7
	v_mul_f16_sdwa v23, v29, v16 dst_sel:DWORD dst_unused:UNUSED_PAD src0_sel:WORD_1 src1_sel:DWORD
	v_mul_f16_sdwa v30, v29, v35 dst_sel:DWORD dst_unused:UNUSED_PAD src0_sel:WORD_1 src1_sel:DWORD
	v_fma_f16 v23, v29, v35, -v23
	v_fma_f16 v16, v29, v16, v30
	v_lshrrev_b32_e32 v29, 16, v17
	s_waitcnt lgkmcnt(1)
	v_lshrrev_b32_e32 v24, 16, v18
	v_mul_f16_sdwa v35, v14, v29 dst_sel:DWORD dst_unused:UNUSED_PAD src0_sel:WORD_1 src1_sel:DWORD
	v_mul_f16_sdwa v64, v13, v18 dst_sel:DWORD dst_unused:UNUSED_PAD src0_sel:WORD_1 src1_sel:DWORD
	s_waitcnt lgkmcnt(0)
	v_lshrrev_b32_e32 v30, 16, v2
	v_fma_f16 v35, v14, v17, v35
	v_mul_f16_sdwa v17, v14, v17 dst_sel:DWORD dst_unused:UNUSED_PAD src0_sel:WORD_1 src1_sel:DWORD
	v_fma_f16 v64, v13, v24, -v64
	v_mul_f16_sdwa v24, v13, v24 dst_sel:DWORD dst_unused:UNUSED_PAD src0_sel:WORD_1 src1_sel:DWORD
	v_fma_f16 v13, v13, v18, v24
	v_fma_f16 v14, v14, v29, -v17
	v_mul_f16_sdwa v17, v15, v2 dst_sel:DWORD dst_unused:UNUSED_PAD src0_sel:WORD_1 src1_sel:DWORD
	v_mul_f16_sdwa v18, v15, v30 dst_sel:DWORD dst_unused:UNUSED_PAD src0_sel:WORD_1 src1_sel:DWORD
	v_fma_f16 v17, v15, v30, -v17
	v_fma_f16 v15, v15, v2, v18
	v_lshrrev_b32_e32 v2, 16, v19
	v_mul_f16_sdwa v24, v25, v2 dst_sel:DWORD dst_unused:UNUSED_PAD src0_sel:WORD_1 src1_sel:DWORD
	v_fma_f16 v24, v25, v19, v24
	v_mul_f16_sdwa v19, v25, v19 dst_sel:DWORD dst_unused:UNUSED_PAD src0_sel:WORD_1 src1_sel:DWORD
	v_lshrrev_b32_e32 v29, 16, v3
	v_fma_f16 v19, v25, v2, -v19
	v_mul_f16_sdwa v2, v27, v29 dst_sel:DWORD dst_unused:UNUSED_PAD src0_sel:WORD_1 src1_sel:DWORD
	v_lshrrev_b32_e32 v18, 16, v8
	v_fma_f16 v25, v27, v3, v2
	v_mul_f16_sdwa v2, v27, v3 dst_sel:DWORD dst_unused:UNUSED_PAD src0_sel:WORD_1 src1_sel:DWORD
	v_mul_f16_sdwa v3, v26, v8 dst_sel:DWORD dst_unused:UNUSED_PAD src0_sel:WORD_1 src1_sel:DWORD
	v_fma_f16 v30, v26, v18, -v3
	v_mul_f16_sdwa v3, v26, v18 dst_sel:DWORD dst_unused:UNUSED_PAD src0_sel:WORD_1 src1_sel:DWORD
	v_fma_f16 v8, v26, v8, v3
	v_fma_f16 v18, v27, v29, -v2
	ds_read2_b32 v[2:3], v43 offset0:64 offset1:80
	v_lshrrev_b32_e32 v26, 16, v4
	v_mul_f16_sdwa v27, v11, v26 dst_sel:DWORD dst_unused:UNUSED_PAD src0_sel:WORD_1 src1_sel:DWORD
	v_fma_f16 v27, v11, v4, v27
	v_mul_f16_sdwa v4, v11, v4 dst_sel:DWORD dst_unused:UNUSED_PAD src0_sel:WORD_1 src1_sel:DWORD
	v_lshrrev_b32_e32 v29, 16, v9
	v_fma_f16 v11, v11, v26, -v4
	v_mul_f16_sdwa v4, v12, v29 dst_sel:DWORD dst_unused:UNUSED_PAD src0_sel:WORD_1 src1_sel:DWORD
	v_fma_f16 v26, v12, v9, v4
	v_mul_f16_sdwa v4, v12, v9 dst_sel:DWORD dst_unused:UNUSED_PAD src0_sel:WORD_1 src1_sel:DWORD
	s_waitcnt lgkmcnt(0)
	v_lshrrev_b32_e32 v9, 16, v3
	v_fma_f16 v12, v12, v29, -v4
	v_mul_f16_sdwa v4, v10, v3 dst_sel:DWORD dst_unused:UNUSED_PAD src0_sel:WORD_1 src1_sel:DWORD
	v_fma_f16 v29, v10, v9, -v4
	v_mul_f16_sdwa v4, v10, v9 dst_sel:DWORD dst_unused:UNUSED_PAD src0_sel:WORD_1 src1_sel:DWORD
	v_fma_f16 v9, v10, v3, v4
	v_lshrrev_b32_e32 v10, 16, v0
	v_sub_f16_e32 v27, v0, v27
	v_sub_f16_e32 v11, v10, v11
	v_sub_f16_e32 v26, v9, v26
	v_sub_f16_e32 v12, v29, v12
	v_fma_f16 v0, v0, 2.0, -v27
	v_fma_f16 v10, v10, 2.0, -v11
	;; [unrolled: 1-line block ×4, first 2 shown]
	v_sub_f16_e32 v9, v0, v9
	v_sub_f16_e32 v29, v10, v29
	v_fma_f16 v0, v0, 2.0, -v9
	v_fma_f16 v10, v10, 2.0, -v29
	ds_read2_b32 v[3:4], v43 offset0:32 offset1:48
	v_pack_b32_f16 v0, v0, v10
	v_add_f16_e32 v10, v27, v12
	v_sub_f16_e32 v12, v11, v26
	v_lshrrev_b32_e32 v65, 16, v1
	v_fma_f16 v26, v27, 2.0, -v10
	v_fma_f16 v11, v11, 2.0, -v12
	v_sub_f16_e32 v22, v1, v22
	v_pack_b32_f16 v11, v26, v11
	v_sub_f16_e32 v5, v65, v5
	v_sub_f16_e32 v6, v36, v6
	;; [unrolled: 1-line block ×3, first 2 shown]
	v_fma_f16 v1, v1, 2.0, -v22
	s_waitcnt lgkmcnt(0)
	; wave barrier
	s_waitcnt lgkmcnt(0)
	ds_write_b32 v43, v11 offset:160
	v_fma_f16 v11, v65, 2.0, -v5
	v_fma_f16 v26, v36, 2.0, -v6
	;; [unrolled: 1-line block ×3, first 2 shown]
	v_sub_f16_e32 v26, v1, v26
	v_sub_f16_e32 v20, v11, v20
	v_lshrrev_b32_e32 v66, 16, v3
	v_fma_f16 v1, v1, 2.0, -v26
	v_fma_f16 v11, v11, 2.0, -v20
	v_add_f16_e32 v21, v22, v21
	v_sub_f16_e32 v6, v5, v6
	v_pack_b32_f16 v9, v9, v29
	v_sub_f16_e32 v16, v3, v16
	v_fma_f16 v22, v22, 2.0, -v21
	v_fma_f16 v5, v5, 2.0, -v6
	v_sub_f16_e32 v23, v66, v23
	v_sub_f16_e32 v34, v33, v34
	;; [unrolled: 1-line block ×3, first 2 shown]
	ds_write_b32 v43, v9 offset:320
	v_pack_b32_f16 v9, v10, v12
	v_pack_b32_f16 v1, v1, v11
	v_lshrrev_b32_e32 v67, 16, v4
	v_fma_f16 v3, v3, 2.0, -v16
	v_lshrrev_b32_e32 v74, 16, v2
	v_fma_f16 v27, v66, 2.0, -v23
	v_fma_f16 v33, v33, 2.0, -v34
	;; [unrolled: 1-line block ×3, first 2 shown]
	ds_write_b32 v43, v9 offset:480
	ds_write2_b32 v43, v0, v1 offset1:16
	v_pack_b32_f16 v0, v22, v5
	v_sub_f16_e32 v35, v4, v35
	v_sub_f16_e32 v8, v2, v8
	;; [unrolled: 1-line block ×4, first 2 shown]
	v_add_f16_e32 v7, v16, v7
	v_sub_f16_e32 v34, v23, v34
	v_sub_f16_e32 v14, v67, v14
	;; [unrolled: 1-line block ×7, first 2 shown]
	ds_write_b32 v43, v0 offset:224
	v_pack_b32_f16 v0, v26, v20
	v_fma_f16 v4, v4, 2.0, -v35
	v_fma_f16 v2, v2, 2.0, -v8
	;; [unrolled: 1-line block ×12, first 2 shown]
	ds_write_b32 v43, v0 offset:384
	v_pack_b32_f16 v0, v21, v6
	v_sub_f16_e32 v13, v4, v13
	v_sub_f16_e32 v64, v36, v64
	;; [unrolled: 1-line block ×4, first 2 shown]
	ds_write_b32 v43, v0 offset:544
	v_pack_b32_f16 v0, v3, v27
	v_pack_b32_f16 v1, v16, v23
	v_fma_f16 v4, v4, 2.0, -v13
	v_fma_f16 v36, v36, 2.0, -v64
	v_add_f16_e32 v17, v35, v17
	v_sub_f16_e32 v15, v14, v15
	v_fma_f16 v2, v2, 2.0, -v24
	v_fma_f16 v65, v65, 2.0, -v19
	v_add_f16_e32 v18, v8, v18
	v_sub_f16_e32 v25, v30, v25
	ds_write2_b32 v68, v0, v1 offset1:40
	v_pack_b32_f16 v0, v33, v28
	v_pack_b32_f16 v1, v7, v34
	v_fma_f16 v35, v35, 2.0, -v17
	v_fma_f16 v14, v14, 2.0, -v15
	;; [unrolled: 1-line block ×4, first 2 shown]
	ds_write2_b32 v68, v0, v1 offset0:80 offset1:120
	v_pack_b32_f16 v0, v4, v36
	v_pack_b32_f16 v2, v2, v65
	v_pack_b32_f16 v1, v35, v14
	ds_write2_b32 v43, v0, v2 offset0:168 offset1:184
	v_pack_b32_f16 v0, v8, v30
	v_pack_b32_f16 v3, v13, v64
	ds_write2_b32 v43, v1, v0 offset0:208 offset1:224
	v_pack_b32_f16 v0, v24, v19
	v_pack_b32_f16 v4, v17, v15
	ds_write2_b32 v79, v3, v0 offset0:120 offset1:136
	v_pack_b32_f16 v0, v18, v25
	ds_write2_b32 v62, v4, v0 offset0:32 offset1:48
	s_waitcnt lgkmcnt(0)
	; wave barrier
	s_waitcnt lgkmcnt(0)
	ds_read2_b32 v[0:1], v43 offset1:16
	ds_read2_b32 v[2:3], v43 offset0:160 offset1:176
	ds_read2_b32 v[6:7], v43 offset0:192 offset1:208
	;; [unrolled: 1-line block ×3, first 2 shown]
	ds_read2_b32 v[14:15], v62 offset1:16
	ds_read2_b32 v[4:5], v43 offset0:32 offset1:48
	s_waitcnt lgkmcnt(4)
	v_lshrrev_b32_e32 v21, 16, v2
	v_mul_f16_sdwa v67, v77, v2 dst_sel:DWORD dst_unused:UNUSED_PAD src0_sel:WORD_1 src1_sel:DWORD
	v_lshrrev_b32_e32 v23, 16, v3
	v_fma_f16 v67, v77, v21, -v67
	v_mul_f16_sdwa v21, v77, v21 dst_sel:DWORD dst_unused:UNUSED_PAD src0_sel:WORD_1 src1_sel:DWORD
	v_fma_f16 v2, v77, v2, v21
	v_mul_f16_sdwa v21, v76, v23 dst_sel:DWORD dst_unused:UNUSED_PAD src0_sel:WORD_1 src1_sel:DWORD
	s_waitcnt lgkmcnt(3)
	v_lshrrev_b32_e32 v25, 16, v6
	v_fma_f16 v21, v76, v3, v21
	v_mul_f16_sdwa v3, v76, v3 dst_sel:DWORD dst_unused:UNUSED_PAD src0_sel:WORD_1 src1_sel:DWORD
	v_fma_f16 v3, v76, v23, -v3
	v_mul_f16_sdwa v23, v72, v25 dst_sel:DWORD dst_unused:UNUSED_PAD src0_sel:WORD_1 src1_sel:DWORD
	v_lshrrev_b32_e32 v27, 16, v7
	v_fma_f16 v23, v72, v6, v23
	v_mul_f16_sdwa v6, v72, v6 dst_sel:DWORD dst_unused:UNUSED_PAD src0_sel:WORD_1 src1_sel:DWORD
	v_fma_f16 v6, v72, v25, -v6
	v_mul_f16_sdwa v25, v70, v27 dst_sel:DWORD dst_unused:UNUSED_PAD src0_sel:WORD_1 src1_sel:DWORD
	s_waitcnt lgkmcnt(2)
	v_lshrrev_b32_e32 v29, 16, v10
	v_fma_f16 v25, v70, v7, v25
	v_mul_f16_sdwa v7, v70, v7 dst_sel:DWORD dst_unused:UNUSED_PAD src0_sel:WORD_1 src1_sel:DWORD
	v_fma_f16 v7, v70, v27, -v7
	v_mul_f16_sdwa v27, v75, v29 dst_sel:DWORD dst_unused:UNUSED_PAD src0_sel:WORD_1 src1_sel:DWORD
	v_lshrrev_b32_e32 v33, 16, v11
	v_fma_f16 v27, v75, v10, v27
	v_mul_f16_sdwa v10, v75, v10 dst_sel:DWORD dst_unused:UNUSED_PAD src0_sel:WORD_1 src1_sel:DWORD
	v_lshrrev_b32_e32 v20, 16, v0
	v_lshrrev_b32_e32 v22, 16, v1
	ds_read2_b32 v[8:9], v43 offset0:64 offset1:80
	ds_read2_b32 v[12:13], v43 offset0:96 offset1:112
	ds_read2_b32 v[16:17], v43 offset0:128 offset1:144
	ds_read2_b32 v[18:19], v62 offset0:32 offset1:48
	v_fma_f16 v10, v75, v29, -v10
	v_mul_f16_sdwa v29, v73, v33 dst_sel:DWORD dst_unused:UNUSED_PAD src0_sel:WORD_1 src1_sel:DWORD
	s_waitcnt lgkmcnt(5)
	v_lshrrev_b32_e32 v35, 16, v14
	v_fma_f16 v29, v73, v11, v29
	v_mul_f16_sdwa v11, v73, v11 dst_sel:DWORD dst_unused:UNUSED_PAD src0_sel:WORD_1 src1_sel:DWORD
	v_sub_f16_e32 v2, v0, v2
	v_sub_f16_e32 v67, v20, v67
	v_sub_f16_e32 v21, v1, v21
	v_sub_f16_e32 v3, v22, v3
	s_waitcnt lgkmcnt(4)
	v_lshrrev_b32_e32 v24, 16, v4
	v_fma_f16 v11, v73, v33, -v11
	v_mul_f16_sdwa v33, v71, v35 dst_sel:DWORD dst_unused:UNUSED_PAD src0_sel:WORD_1 src1_sel:DWORD
	v_fma_f16 v0, v0, 2.0, -v2
	v_fma_f16 v20, v20, 2.0, -v67
	;; [unrolled: 1-line block ×4, first 2 shown]
	v_lshrrev_b32_e32 v62, 16, v15
	v_fma_f16 v33, v71, v14, v33
	v_mul_f16_sdwa v14, v71, v14 dst_sel:DWORD dst_unused:UNUSED_PAD src0_sel:WORD_1 src1_sel:DWORD
	v_sub_f16_e32 v23, v4, v23
	v_sub_f16_e32 v6, v24, v6
	v_pack_b32_f16 v0, v0, v20
	v_pack_b32_f16 v2, v2, v67
	;; [unrolled: 1-line block ×3, first 2 shown]
	v_lshrrev_b32_e32 v26, 16, v5
	v_fma_f16 v14, v71, v35, -v14
	v_mul_f16_sdwa v35, v69, v62 dst_sel:DWORD dst_unused:UNUSED_PAD src0_sel:WORD_1 src1_sel:DWORD
	v_fma_f16 v4, v4, 2.0, -v23
	v_fma_f16 v24, v24, 2.0, -v6
	ds_write_b32 v43, v2 offset:640
	ds_write2_b32 v43, v0, v1 offset1:16
	v_pack_b32_f16 v0, v21, v3
	s_waitcnt lgkmcnt(2)
	v_lshrrev_b32_e32 v65, 16, v18
	v_fma_f16 v35, v69, v15, v35
	v_mul_f16_sdwa v15, v69, v15 dst_sel:DWORD dst_unused:UNUSED_PAD src0_sel:WORD_1 src1_sel:DWORD
	v_sub_f16_e32 v25, v5, v25
	v_sub_f16_e32 v7, v26, v7
	ds_write_b32 v43, v0 offset:704
	v_pack_b32_f16 v0, v4, v24
	v_lshrrev_b32_e32 v28, 16, v8
	v_lshrrev_b32_e32 v30, 16, v9
	v_fma_f16 v15, v69, v62, -v15
	v_mul_f16_sdwa v62, v80, v65 dst_sel:DWORD dst_unused:UNUSED_PAD src0_sel:WORD_1 src1_sel:DWORD
	v_fma_f16 v5, v5, 2.0, -v25
	v_fma_f16 v26, v26, 2.0, -v7
	ds_write_b32 v43, v0 offset:128
	v_pack_b32_f16 v0, v23, v6
	v_lshrrev_b32_e32 v68, 16, v19
	v_fma_f16 v62, v80, v18, v62
	v_mul_f16_sdwa v18, v80, v18 dst_sel:DWORD dst_unused:UNUSED_PAD src0_sel:WORD_1 src1_sel:DWORD
	v_sub_f16_e32 v27, v8, v27
	v_sub_f16_e32 v10, v28, v10
	;; [unrolled: 1-line block ×4, first 2 shown]
	ds_write_b32 v38, v0 offset:768
	v_pack_b32_f16 v0, v5, v26
	v_lshrrev_b32_e32 v34, 16, v12
	v_lshrrev_b32_e32 v36, 16, v13
	v_fma_f16 v18, v80, v65, -v18
	v_mul_f16_sdwa v65, v81, v68 dst_sel:DWORD dst_unused:UNUSED_PAD src0_sel:WORD_1 src1_sel:DWORD
	v_fma_f16 v8, v8, 2.0, -v27
	v_fma_f16 v28, v28, 2.0, -v10
	;; [unrolled: 1-line block ×4, first 2 shown]
	ds_write_b32 v43, v0 offset:192
	v_pack_b32_f16 v0, v25, v7
	v_fma_f16 v65, v81, v19, v65
	v_mul_f16_sdwa v19, v81, v19 dst_sel:DWORD dst_unused:UNUSED_PAD src0_sel:WORD_1 src1_sel:DWORD
	v_sub_f16_e32 v33, v12, v33
	v_sub_f16_e32 v14, v34, v14
	;; [unrolled: 1-line block ×4, first 2 shown]
	ds_write_b32 v38, v0 offset:832
	v_pack_b32_f16 v0, v8, v28
	v_pack_b32_f16 v1, v9, v30
	v_lshrrev_b32_e32 v64, 16, v16
	v_lshrrev_b32_e32 v66, 16, v17
	v_fma_f16 v19, v81, v68, -v19
	v_fma_f16 v12, v12, 2.0, -v33
	v_fma_f16 v34, v34, 2.0, -v14
	;; [unrolled: 1-line block ×4, first 2 shown]
	ds_write_b32 v43, v0 offset:256
	v_pack_b32_f16 v0, v27, v10
	ds_write_b32 v38, v1 offset:320
	v_pack_b32_f16 v1, v29, v11
	v_sub_f16_e32 v62, v16, v62
	v_sub_f16_e32 v18, v64, v18
	v_sub_f16_e32 v65, v17, v65
	v_sub_f16_e32 v19, v66, v19
	ds_write2_b32 v38, v0, v1 offset0:224 offset1:240
	v_pack_b32_f16 v0, v12, v34
	v_pack_b32_f16 v1, v13, v36
	v_fma_f16 v16, v16, 2.0, -v62
	v_fma_f16 v64, v64, 2.0, -v18
	;; [unrolled: 1-line block ×4, first 2 shown]
	ds_write_b32 v43, v0 offset:384
	v_pack_b32_f16 v0, v33, v14
	ds_write_b32 v38, v1 offset:448
	v_pack_b32_f16 v1, v35, v15
	ds_write2_b32 v55, v0, v1 offset1:16
	v_pack_b32_f16 v0, v16, v64
	v_pack_b32_f16 v1, v17, v66
	ds_write_b32 v43, v0 offset:512
	v_pack_b32_f16 v0, v62, v18
	ds_write_b32 v38, v1 offset:576
	v_pack_b32_f16 v1, v65, v19
	ds_write2_b32 v55, v0, v1 offset0:32 offset1:48
	s_waitcnt lgkmcnt(0)
	; wave barrier
	s_waitcnt lgkmcnt(0)
	ds_read2_b32 v[3:4], v43 offset1:16
	v_mov_b32_e32 v9, 0x7c00
	v_mov_b32_e32 v12, s5
	s_waitcnt lgkmcnt(0)
	v_lshrrev_b32_e32 v2, 16, v3
	v_mul_f16_sdwa v0, v61, v2 dst_sel:DWORD dst_unused:UNUSED_PAD src0_sel:WORD_1 src1_sel:DWORD
	v_fma_f16 v0, v61, v3, v0
	v_cvt_f32_f16_e32 v0, v0
	v_mul_f16_sdwa v3, v61, v3 dst_sel:DWORD dst_unused:UNUSED_PAD src0_sel:WORD_1 src1_sel:DWORD
	v_fma_f16 v2, v61, v2, -v3
	v_cvt_f32_f16_e32 v2, v2
	v_cvt_f64_f32_e32 v[0:1], v0
	v_cvt_f64_f32_e32 v[2:3], v2
	v_mul_f64 v[0:1], v[0:1], s[2:3]
	v_mul_f64 v[2:3], v[2:3], s[2:3]
	v_and_or_b32 v0, v1, s6, v0
	v_cmp_ne_u32_e32 vcc, 0, v0
	v_cndmask_b32_e64 v0, 0, 1, vcc
	v_lshrrev_b32_e32 v5, 8, v1
	v_bfe_u32 v6, v1, 20, 11
	v_and_or_b32 v0, v5, s7, v0
	v_sub_u32_e32 v7, 0x3f1, v6
	v_or_b32_e32 v5, 0x1000, v0
	v_med3_i32 v7, v7, 0, 13
	v_lshrrev_b32_e32 v8, v7, v5
	v_lshlrev_b32_e32 v7, v7, v8
	v_cmp_ne_u32_e32 vcc, v7, v5
	v_cndmask_b32_e64 v5, 0, 1, vcc
	v_add_u32_e32 v6, 0xfffffc10, v6
	v_or_b32_e32 v5, v8, v5
	v_lshl_or_b32 v7, v6, 12, v0
	v_cmp_gt_i32_e32 vcc, 1, v6
	v_cndmask_b32_e32 v5, v7, v5, vcc
	v_and_b32_e32 v7, 7, v5
	v_cmp_lt_i32_e32 vcc, 5, v7
	v_cmp_eq_u32_e64 s[0:1], 3, v7
	v_lshrrev_b32_e32 v5, 2, v5
	s_or_b64 vcc, s[0:1], vcc
	v_addc_co_u32_e32 v5, vcc, 0, v5, vcc
	v_cmp_gt_i32_e32 vcc, 31, v6
	v_cndmask_b32_e32 v5, v9, v5, vcc
	v_cmp_ne_u32_e32 vcc, 0, v0
	v_cndmask_b32_e64 v0, 0, 1, vcc
	v_lshl_or_b32 v0, v0, 9, v9
	v_cmp_eq_u32_e32 vcc, s10, v6
	v_cndmask_b32_e32 v0, v5, v0, vcc
	v_lshrrev_b32_e32 v1, 16, v1
	v_and_or_b32 v7, v1, s11, v0
	v_and_or_b32 v0, v3, s6, v2
	v_cmp_ne_u32_e32 vcc, 0, v0
	v_cndmask_b32_e64 v0, 0, 1, vcc
	v_lshrrev_b32_e32 v1, 8, v3
	v_bfe_u32 v2, v3, 20, 11
	v_and_or_b32 v0, v1, s7, v0
	v_sub_u32_e32 v5, 0x3f1, v2
	v_or_b32_e32 v1, 0x1000, v0
	v_med3_i32 v5, v5, 0, 13
	v_lshrrev_b32_e32 v6, v5, v1
	v_lshlrev_b32_e32 v5, v5, v6
	v_cmp_ne_u32_e32 vcc, v5, v1
	v_cndmask_b32_e64 v1, 0, 1, vcc
	v_add_u32_e32 v2, 0xfffffc10, v2
	v_or_b32_e32 v1, v6, v1
	v_lshl_or_b32 v5, v2, 12, v0
	v_cmp_gt_i32_e32 vcc, 1, v2
	v_cndmask_b32_e32 v1, v5, v1, vcc
	v_and_b32_e32 v5, 7, v1
	v_cmp_lt_i32_e32 vcc, 5, v5
	v_cmp_eq_u32_e64 s[0:1], 3, v5
	v_lshrrev_b32_e32 v1, 2, v1
	s_or_b64 vcc, s[0:1], vcc
	v_addc_co_u32_e32 v1, vcc, 0, v1, vcc
	v_cmp_gt_i32_e32 vcc, 31, v2
	v_cndmask_b32_e32 v5, v9, v1, vcc
	v_cmp_ne_u32_e32 vcc, 0, v0
	v_cndmask_b32_e64 v0, 0, 1, vcc
	v_lshl_or_b32 v6, v0, 9, v9
	v_cmp_eq_u32_e32 vcc, s10, v2
	v_cndmask_b32_e32 v8, v5, v6, vcc
	ds_read2_b32 v[5:6], v43 offset0:32 offset1:48
	v_mad_u64_u32 v[0:1], s[0:1], s8, v60, 0
	v_lshrrev_b32_e32 v3, 16, v3
	v_and_or_b32 v8, v3, s11, v8
	v_mad_u64_u32 v[1:2], s[0:1], s9, v60, v[1:2]
	s_waitcnt lgkmcnt(0)
	v_lshrrev_b32_e32 v10, 16, v5
	v_mul_f16_sdwa v2, v59, v10 dst_sel:DWORD dst_unused:UNUSED_PAD src0_sel:WORD_1 src1_sel:DWORD
	v_fma_f16 v2, v59, v5, v2
	v_cvt_f32_f16_e32 v2, v2
	v_and_b32_e32 v7, 0xffff, v7
	v_lshl_or_b32 v11, v8, 16, v7
	v_lshlrev_b64 v[7:8], 2, v[31:32]
	v_cvt_f64_f32_e32 v[2:3], v2
	v_add_co_u32_e32 v7, vcc, s4, v7
	v_lshlrev_b64 v[0:1], 2, v[0:1]
	v_mul_f64 v[2:3], v[2:3], s[2:3]
	v_addc_co_u32_e32 v8, vcc, v12, v8, vcc
	v_add_co_u32_e32 v0, vcc, v7, v0
	v_addc_co_u32_e32 v1, vcc, v8, v1, vcc
	global_store_dword v[0:1], v11, off
	v_and_or_b32 v2, v3, s6, v2
	v_cmp_ne_u32_e32 vcc, 0, v2
	v_cndmask_b32_e64 v2, 0, 1, vcc
	v_lshrrev_b32_e32 v7, 8, v3
	v_bfe_u32 v8, v3, 20, 11
	v_and_or_b32 v2, v7, s7, v2
	v_sub_u32_e32 v11, 0x3f1, v8
	v_or_b32_e32 v7, 0x1000, v2
	v_med3_i32 v11, v11, 0, 13
	v_lshrrev_b32_e32 v12, v11, v7
	v_lshlrev_b32_e32 v11, v11, v12
	v_mul_f16_sdwa v5, v59, v5 dst_sel:DWORD dst_unused:UNUSED_PAD src0_sel:WORD_1 src1_sel:DWORD
	v_cmp_ne_u32_e32 vcc, v11, v7
	v_fma_f16 v5, v59, v10, -v5
	v_cndmask_b32_e64 v7, 0, 1, vcc
	v_add_u32_e32 v11, 0xfffffc10, v8
	v_cvt_f32_f16_e32 v5, v5
	v_or_b32_e32 v7, v12, v7
	v_lshl_or_b32 v8, v11, 12, v2
	v_cmp_gt_i32_e32 vcc, 1, v11
	v_cndmask_b32_e32 v7, v8, v7, vcc
	v_and_b32_e32 v8, 7, v7
	v_cmp_lt_i32_e32 vcc, 5, v8
	v_cmp_eq_u32_e64 s[0:1], 3, v8
	v_lshrrev_b32_e32 v10, 2, v7
	v_cvt_f64_f32_e32 v[7:8], v5
	s_or_b64 vcc, s[0:1], vcc
	v_addc_co_u32_e32 v5, vcc, 0, v10, vcc
	v_mul_f64 v[7:8], v[7:8], s[2:3]
	v_cmp_gt_i32_e32 vcc, 31, v11
	v_cndmask_b32_e32 v5, v9, v5, vcc
	v_cmp_ne_u32_e32 vcc, 0, v2
	v_cndmask_b32_e64 v2, 0, 1, vcc
	v_lshl_or_b32 v2, v2, 9, v9
	v_cmp_eq_u32_e32 vcc, s10, v11
	v_cndmask_b32_e32 v2, v5, v2, vcc
	v_lshrrev_b32_e32 v3, 16, v3
	v_and_or_b32 v5, v3, s11, v2
	v_and_or_b32 v2, v8, s6, v7
	v_cmp_ne_u32_e32 vcc, 0, v2
	v_cndmask_b32_e64 v2, 0, 1, vcc
	v_lshrrev_b32_e32 v3, 8, v8
	v_and_or_b32 v7, v3, s7, v2
	v_bfe_u32 v3, v8, 20, 11
	v_sub_u32_e32 v10, 0x3f1, v3
	v_or_b32_e32 v2, 0x1000, v7
	v_med3_i32 v10, v10, 0, 13
	v_lshrrev_b32_e32 v11, v10, v2
	v_lshlrev_b32_e32 v10, v10, v11
	v_cmp_ne_u32_e32 vcc, v10, v2
	v_cndmask_b32_e64 v2, 0, 1, vcc
	v_add_u32_e32 v10, 0xfffffc10, v3
	v_or_b32_e32 v2, v11, v2
	v_lshl_or_b32 v3, v10, 12, v7
	v_cmp_gt_i32_e32 vcc, 1, v10
	v_cndmask_b32_e32 v2, v3, v2, vcc
	v_and_b32_e32 v3, 7, v2
	v_cmp_lt_i32_e32 vcc, 5, v3
	v_cmp_eq_u32_e64 s[0:1], 3, v3
	v_lshrrev_b32_e32 v2, 2, v2
	s_or_b64 vcc, s[0:1], vcc
	v_addc_co_u32_e32 v11, vcc, 0, v2, vcc
	ds_read2_b32 v[2:3], v43 offset0:64 offset1:96
	v_cmp_gt_i32_e32 vcc, 31, v10
	v_cndmask_b32_e32 v11, v9, v11, vcc
	v_cmp_ne_u32_e32 vcc, 0, v7
	v_cndmask_b32_e64 v7, 0, 1, vcc
	s_waitcnt lgkmcnt(0)
	v_lshrrev_b32_e32 v12, 16, v2
	v_mul_f16_sdwa v13, v58, v12 dst_sel:DWORD dst_unused:UNUSED_PAD src0_sel:WORD_1 src1_sel:DWORD
	v_fma_f16 v13, v58, v2, v13
	v_cvt_f32_f16_e32 v13, v13
	v_lshl_or_b32 v7, v7, 9, v9
	v_cmp_eq_u32_e32 vcc, s10, v10
	v_cndmask_b32_e32 v10, v11, v7, vcc
	v_lshrrev_b32_e32 v11, 16, v8
	v_cvt_f64_f32_e32 v[7:8], v13
	v_and_or_b32 v10, v11, s11, v10
	v_and_b32_e32 v5, 0xffff, v5
	s_lshl_b64 s[4:5], s[8:9], 7
	v_mul_f64 v[7:8], v[7:8], s[2:3]
	v_lshl_or_b32 v10, v10, 16, v5
	v_mov_b32_e32 v5, s5
	v_add_co_u32_e32 v0, vcc, s4, v0
	v_addc_co_u32_e32 v1, vcc, v1, v5, vcc
	global_store_dword v[0:1], v10, off
	v_and_or_b32 v7, v8, s6, v7
	v_cmp_ne_u32_e32 vcc, 0, v7
	v_cndmask_b32_e64 v7, 0, 1, vcc
	v_lshrrev_b32_e32 v10, 8, v8
	v_bfe_u32 v11, v8, 20, 11
	v_and_or_b32 v7, v10, s7, v7
	v_sub_u32_e32 v13, 0x3f1, v11
	v_or_b32_e32 v10, 0x1000, v7
	v_med3_i32 v13, v13, 0, 13
	v_lshrrev_b32_e32 v14, v13, v10
	v_lshlrev_b32_e32 v13, v13, v14
	v_mul_f16_sdwa v2, v58, v2 dst_sel:DWORD dst_unused:UNUSED_PAD src0_sel:WORD_1 src1_sel:DWORD
	v_cmp_ne_u32_e32 vcc, v13, v10
	v_fma_f16 v2, v58, v12, -v2
	v_cndmask_b32_e64 v10, 0, 1, vcc
	v_add_u32_e32 v13, 0xfffffc10, v11
	v_cvt_f32_f16_e32 v2, v2
	v_or_b32_e32 v10, v14, v10
	v_lshl_or_b32 v11, v13, 12, v7
	v_cmp_gt_i32_e32 vcc, 1, v13
	v_cndmask_b32_e32 v10, v11, v10, vcc
	v_and_b32_e32 v11, 7, v10
	v_cmp_lt_i32_e32 vcc, 5, v11
	v_cmp_eq_u32_e64 s[0:1], 3, v11
	v_lshrrev_b32_e32 v12, 2, v10
	v_cvt_f64_f32_e32 v[10:11], v2
	s_or_b64 vcc, s[0:1], vcc
	v_addc_co_u32_e32 v2, vcc, 0, v12, vcc
	v_mul_f64 v[10:11], v[10:11], s[2:3]
	v_cmp_gt_i32_e32 vcc, 31, v13
	v_cndmask_b32_e32 v2, v9, v2, vcc
	v_cmp_ne_u32_e32 vcc, 0, v7
	v_cndmask_b32_e64 v7, 0, 1, vcc
	v_lshl_or_b32 v7, v7, 9, v9
	v_cmp_eq_u32_e32 vcc, s10, v13
	v_cndmask_b32_e32 v2, v2, v7, vcc
	v_lshrrev_b32_e32 v7, 16, v8
	v_and_or_b32 v2, v7, s11, v2
	v_and_or_b32 v7, v11, s6, v10
	v_cmp_ne_u32_e32 vcc, 0, v7
	v_cndmask_b32_e64 v7, 0, 1, vcc
	v_lshrrev_b32_e32 v8, 8, v11
	v_bfe_u32 v10, v11, 20, 11
	v_and_or_b32 v7, v8, s7, v7
	v_sub_u32_e32 v12, 0x3f1, v10
	v_or_b32_e32 v8, 0x1000, v7
	v_med3_i32 v12, v12, 0, 13
	v_lshrrev_b32_e32 v13, v12, v8
	v_lshlrev_b32_e32 v12, v12, v13
	v_cmp_ne_u32_e32 vcc, v12, v8
	v_cndmask_b32_e64 v8, 0, 1, vcc
	v_add_u32_e32 v10, 0xfffffc10, v10
	v_or_b32_e32 v8, v13, v8
	v_lshl_or_b32 v12, v10, 12, v7
	v_cmp_gt_i32_e32 vcc, 1, v10
	v_cndmask_b32_e32 v8, v12, v8, vcc
	v_and_b32_e32 v12, 7, v8
	v_cmp_lt_i32_e32 vcc, 5, v12
	v_cmp_eq_u32_e64 s[0:1], 3, v12
	v_lshrrev_b32_e32 v8, 2, v8
	s_or_b64 vcc, s[0:1], vcc
	v_addc_co_u32_e32 v8, vcc, 0, v8, vcc
	v_cmp_gt_i32_e32 vcc, 31, v10
	v_lshrrev_b32_e32 v13, 16, v3
	v_cndmask_b32_e32 v12, v9, v8, vcc
	v_mul_f16_sdwa v8, v57, v13 dst_sel:DWORD dst_unused:UNUSED_PAD src0_sel:WORD_1 src1_sel:DWORD
	v_fma_f16 v8, v57, v3, v8
	v_cvt_f32_f16_e32 v8, v8
	v_cmp_ne_u32_e32 vcc, 0, v7
	v_cndmask_b32_e64 v7, 0, 1, vcc
	v_lshl_or_b32 v14, v7, 9, v9
	v_cvt_f64_f32_e32 v[7:8], v8
	v_cmp_eq_u32_e32 vcc, s10, v10
	v_cndmask_b32_e32 v10, v12, v14, vcc
	v_lshrrev_b32_e32 v11, 16, v11
	v_mul_f64 v[7:8], v[7:8], s[2:3]
	v_and_or_b32 v10, v11, s11, v10
	v_and_b32_e32 v2, 0xffff, v2
	v_add_co_u32_e32 v0, vcc, s4, v0
	v_lshl_or_b32 v2, v10, 16, v2
	v_addc_co_u32_e32 v1, vcc, v1, v5, vcc
	global_store_dword v[0:1], v2, off
	v_and_or_b32 v2, v8, s6, v7
	v_cmp_ne_u32_e32 vcc, 0, v2
	v_cndmask_b32_e64 v2, 0, 1, vcc
	v_lshrrev_b32_e32 v7, 8, v8
	v_bfe_u32 v10, v8, 20, 11
	v_and_or_b32 v7, v7, s7, v2
	v_sub_u32_e32 v11, 0x3f1, v10
	v_or_b32_e32 v2, 0x1000, v7
	v_med3_i32 v11, v11, 0, 13
	v_lshrrev_b32_e32 v12, v11, v2
	v_lshlrev_b32_e32 v11, v11, v12
	v_mul_f16_sdwa v3, v57, v3 dst_sel:DWORD dst_unused:UNUSED_PAD src0_sel:WORD_1 src1_sel:DWORD
	v_cmp_ne_u32_e32 vcc, v11, v2
	v_fma_f16 v3, v57, v13, -v3
	v_cndmask_b32_e64 v2, 0, 1, vcc
	v_add_u32_e32 v10, 0xfffffc10, v10
	v_cvt_f32_f16_e32 v3, v3
	v_or_b32_e32 v2, v12, v2
	v_lshl_or_b32 v11, v10, 12, v7
	v_cmp_gt_i32_e32 vcc, 1, v10
	v_cndmask_b32_e32 v2, v11, v2, vcc
	v_and_b32_e32 v11, 7, v2
	v_cmp_lt_i32_e32 vcc, 5, v11
	v_cmp_eq_u32_e64 s[0:1], 3, v11
	v_lshrrev_b32_e32 v11, 2, v2
	v_cvt_f64_f32_e32 v[2:3], v3
	s_or_b64 vcc, s[0:1], vcc
	v_addc_co_u32_e32 v11, vcc, 0, v11, vcc
	v_mul_f64 v[2:3], v[2:3], s[2:3]
	v_cmp_gt_i32_e32 vcc, 31, v10
	v_cndmask_b32_e32 v11, v9, v11, vcc
	v_cmp_ne_u32_e32 vcc, 0, v7
	v_cndmask_b32_e64 v7, 0, 1, vcc
	v_lshl_or_b32 v7, v7, 9, v9
	v_cmp_eq_u32_e32 vcc, s10, v10
	v_cndmask_b32_e32 v7, v11, v7, vcc
	v_and_or_b32 v2, v3, s6, v2
	v_lshrrev_b32_e32 v8, 16, v8
	v_cmp_ne_u32_e32 vcc, 0, v2
	v_and_or_b32 v12, v8, s11, v7
	v_cndmask_b32_e64 v2, 0, 1, vcc
	v_lshrrev_b32_e32 v7, 8, v3
	v_bfe_u32 v8, v3, 20, 11
	v_and_or_b32 v2, v7, s7, v2
	v_sub_u32_e32 v10, 0x3f1, v8
	v_or_b32_e32 v7, 0x1000, v2
	v_med3_i32 v10, v10, 0, 13
	v_lshrrev_b32_e32 v11, v10, v7
	v_lshlrev_b32_e32 v10, v10, v11
	v_cmp_ne_u32_e32 vcc, v10, v7
	v_cndmask_b32_e64 v7, 0, 1, vcc
	v_add_u32_e32 v13, 0xfffffc10, v8
	v_or_b32_e32 v7, v11, v7
	v_lshl_or_b32 v8, v13, 12, v2
	v_cmp_gt_i32_e32 vcc, 1, v13
	v_cndmask_b32_e32 v7, v8, v7, vcc
	v_and_b32_e32 v8, 7, v7
	v_cmp_lt_i32_e32 vcc, 5, v8
	v_cmp_eq_u32_e64 s[0:1], 3, v8
	v_lshrrev_b32_e32 v10, 2, v7
	ds_read2_b32 v[7:8], v43 offset0:128 offset1:160
	s_or_b64 vcc, s[0:1], vcc
	v_addc_co_u32_e32 v10, vcc, 0, v10, vcc
	v_cmp_gt_i32_e32 vcc, 31, v13
	s_waitcnt lgkmcnt(0)
	v_lshrrev_b32_e32 v15, 16, v7
	v_cndmask_b32_e32 v14, v9, v10, vcc
	v_mul_f16_sdwa v10, v56, v15 dst_sel:DWORD dst_unused:UNUSED_PAD src0_sel:WORD_1 src1_sel:DWORD
	v_fma_f16 v10, v56, v7, v10
	v_cvt_f32_f16_e32 v10, v10
	v_cmp_ne_u32_e32 vcc, 0, v2
	v_cndmask_b32_e64 v2, 0, 1, vcc
	v_lshl_or_b32 v2, v2, 9, v9
	v_cvt_f64_f32_e32 v[10:11], v10
	v_cmp_eq_u32_e32 vcc, s10, v13
	v_cndmask_b32_e32 v2, v14, v2, vcc
	v_lshrrev_b32_e32 v3, 16, v3
	v_and_or_b32 v13, v3, s11, v2
	v_mul_f64 v[2:3], v[10:11], s[2:3]
	v_add_co_u32_e32 v0, vcc, s4, v0
	v_and_b32_e32 v10, 0xffff, v12
	v_addc_co_u32_e32 v1, vcc, v1, v5, vcc
	v_lshl_or_b32 v10, v13, 16, v10
	global_store_dword v[0:1], v10, off
	v_and_or_b32 v2, v3, s6, v2
	v_cmp_ne_u32_e32 vcc, 0, v2
	v_cndmask_b32_e64 v2, 0, 1, vcc
	v_lshrrev_b32_e32 v10, 8, v3
	v_bfe_u32 v11, v3, 20, 11
	v_and_or_b32 v2, v10, s7, v2
	v_sub_u32_e32 v12, 0x3f1, v11
	v_or_b32_e32 v10, 0x1000, v2
	v_med3_i32 v12, v12, 0, 13
	v_lshrrev_b32_e32 v13, v12, v10
	v_lshlrev_b32_e32 v12, v12, v13
	v_mul_f16_sdwa v7, v56, v7 dst_sel:DWORD dst_unused:UNUSED_PAD src0_sel:WORD_1 src1_sel:DWORD
	v_cmp_ne_u32_e32 vcc, v12, v10
	v_fma_f16 v7, v56, v15, -v7
	v_cndmask_b32_e64 v10, 0, 1, vcc
	v_add_u32_e32 v12, 0xfffffc10, v11
	v_cvt_f32_f16_e32 v7, v7
	v_or_b32_e32 v10, v13, v10
	v_lshl_or_b32 v11, v12, 12, v2
	v_cmp_gt_i32_e32 vcc, 1, v12
	v_cndmask_b32_e32 v10, v11, v10, vcc
	v_and_b32_e32 v11, 7, v10
	v_cmp_lt_i32_e32 vcc, 5, v11
	v_cmp_eq_u32_e64 s[0:1], 3, v11
	v_lshrrev_b32_e32 v13, 2, v10
	v_cvt_f64_f32_e32 v[10:11], v7
	s_or_b64 vcc, s[0:1], vcc
	v_addc_co_u32_e32 v7, vcc, 0, v13, vcc
	v_mul_f64 v[10:11], v[10:11], s[2:3]
	v_cmp_gt_i32_e32 vcc, 31, v12
	v_cndmask_b32_e32 v7, v9, v7, vcc
	v_cmp_ne_u32_e32 vcc, 0, v2
	v_cndmask_b32_e64 v2, 0, 1, vcc
	v_lshl_or_b32 v2, v2, 9, v9
	v_cmp_eq_u32_e32 vcc, s10, v12
	v_cndmask_b32_e32 v2, v7, v2, vcc
	v_lshrrev_b32_e32 v3, 16, v3
	v_and_or_b32 v7, v3, s11, v2
	v_and_or_b32 v2, v11, s6, v10
	v_cmp_ne_u32_e32 vcc, 0, v2
	v_cndmask_b32_e64 v2, 0, 1, vcc
	v_lshrrev_b32_e32 v3, 8, v11
	v_bfe_u32 v10, v11, 20, 11
	v_and_or_b32 v2, v3, s7, v2
	v_sub_u32_e32 v12, 0x3f1, v10
	v_or_b32_e32 v3, 0x1000, v2
	v_med3_i32 v12, v12, 0, 13
	v_lshrrev_b32_e32 v13, v12, v3
	v_lshlrev_b32_e32 v12, v12, v13
	v_cmp_ne_u32_e32 vcc, v12, v3
	v_cndmask_b32_e64 v3, 0, 1, vcc
	v_add_u32_e32 v10, 0xfffffc10, v10
	v_or_b32_e32 v3, v13, v3
	v_lshl_or_b32 v12, v10, 12, v2
	v_cmp_gt_i32_e32 vcc, 1, v10
	v_cndmask_b32_e32 v3, v12, v3, vcc
	v_and_b32_e32 v12, 7, v3
	v_cmp_lt_i32_e32 vcc, 5, v12
	v_cmp_eq_u32_e64 s[0:1], 3, v12
	v_lshrrev_b32_e32 v3, 2, v3
	s_or_b64 vcc, s[0:1], vcc
	v_addc_co_u32_e32 v3, vcc, 0, v3, vcc
	v_cmp_gt_i32_e32 vcc, 31, v10
	v_lshrrev_b32_e32 v13, 16, v8
	v_cndmask_b32_e32 v12, v9, v3, vcc
	v_mul_f16_sdwa v3, v54, v13 dst_sel:DWORD dst_unused:UNUSED_PAD src0_sel:WORD_1 src1_sel:DWORD
	v_fma_f16 v3, v54, v8, v3
	v_cvt_f32_f16_e32 v3, v3
	v_cmp_ne_u32_e32 vcc, 0, v2
	v_cndmask_b32_e64 v2, 0, 1, vcc
	v_lshl_or_b32 v14, v2, 9, v9
	v_cvt_f64_f32_e32 v[2:3], v3
	v_cmp_eq_u32_e32 vcc, s10, v10
	v_cndmask_b32_e32 v10, v12, v14, vcc
	v_lshrrev_b32_e32 v11, 16, v11
	v_mul_f64 v[2:3], v[2:3], s[2:3]
	v_add_co_u32_e32 v0, vcc, s4, v0
	v_and_or_b32 v10, v11, s11, v10
	v_and_b32_e32 v7, 0xffff, v7
	v_addc_co_u32_e32 v1, vcc, v1, v5, vcc
	v_lshl_or_b32 v7, v10, 16, v7
	v_and_or_b32 v2, v3, s6, v2
	v_cmp_ne_u32_e32 vcc, 0, v2
	global_store_dword v[0:1], v7, off
	v_cndmask_b32_e64 v2, 0, 1, vcc
	v_lshrrev_b32_e32 v7, 8, v3
	v_bfe_u32 v10, v3, 20, 11
	v_and_or_b32 v2, v7, s7, v2
	v_sub_u32_e32 v11, 0x3f1, v10
	v_or_b32_e32 v7, 0x1000, v2
	v_med3_i32 v11, v11, 0, 13
	v_lshrrev_b32_e32 v12, v11, v7
	v_lshlrev_b32_e32 v11, v11, v12
	v_cmp_ne_u32_e32 vcc, v11, v7
	v_mul_f16_sdwa v8, v54, v8 dst_sel:DWORD dst_unused:UNUSED_PAD src0_sel:WORD_1 src1_sel:DWORD
	v_cndmask_b32_e64 v7, 0, 1, vcc
	v_fma_f16 v8, v54, v13, -v8
	v_or_b32_e32 v7, v12, v7
	v_add_u32_e32 v12, 0xfffffc10, v10
	v_cvt_f32_f16_e32 v8, v8
	v_lshl_or_b32 v10, v12, 12, v2
	v_cmp_gt_i32_e32 vcc, 1, v12
	v_cndmask_b32_e32 v7, v10, v7, vcc
	v_and_b32_e32 v10, 7, v7
	v_cmp_lt_i32_e32 vcc, 5, v10
	v_cmp_eq_u32_e64 s[0:1], 3, v10
	v_lshrrev_b32_e32 v10, 2, v7
	v_cvt_f64_f32_e32 v[7:8], v8
	s_or_b64 vcc, s[0:1], vcc
	v_addc_co_u32_e32 v10, vcc, 0, v10, vcc
	v_cmp_gt_i32_e32 vcc, 31, v12
	v_cndmask_b32_e32 v13, v9, v10, vcc
	v_mul_f64 v[10:11], v[7:8], s[2:3]
	v_cmp_ne_u32_e32 vcc, 0, v2
	v_cndmask_b32_e64 v2, 0, 1, vcc
	v_lshl_or_b32 v2, v2, 9, v9
	v_cmp_eq_u32_e32 vcc, s10, v12
	v_cndmask_b32_e32 v2, v13, v2, vcc
	v_lshrrev_b32_e32 v3, 16, v3
	v_and_or_b32 v12, v3, s11, v2
	v_and_or_b32 v2, v11, s6, v10
	v_cmp_ne_u32_e32 vcc, 0, v2
	v_cndmask_b32_e64 v2, 0, 1, vcc
	v_lshrrev_b32_e32 v3, 8, v11
	v_bfe_u32 v7, v11, 20, 11
	v_and_or_b32 v2, v3, s7, v2
	v_sub_u32_e32 v8, 0x3f1, v7
	v_or_b32_e32 v3, 0x1000, v2
	v_med3_i32 v8, v8, 0, 13
	v_lshrrev_b32_e32 v10, v8, v3
	v_lshlrev_b32_e32 v8, v8, v10
	v_cmp_ne_u32_e32 vcc, v8, v3
	v_cndmask_b32_e64 v3, 0, 1, vcc
	v_or_b32_e32 v3, v10, v3
	v_add_u32_e32 v10, 0xfffffc10, v7
	v_lshl_or_b32 v7, v10, 12, v2
	v_cmp_gt_i32_e32 vcc, 1, v10
	v_cndmask_b32_e32 v3, v7, v3, vcc
	v_and_b32_e32 v7, 7, v3
	v_cmp_lt_i32_e32 vcc, 5, v7
	v_cmp_eq_u32_e64 s[0:1], 3, v7
	ds_read2_b32 v[7:8], v38 offset0:144 offset1:192
	v_lshrrev_b32_e32 v3, 2, v3
	s_or_b64 vcc, s[0:1], vcc
	v_addc_co_u32_e32 v3, vcc, 0, v3, vcc
	v_cmp_gt_i32_e32 vcc, 31, v10
	s_waitcnt lgkmcnt(0)
	v_lshrrev_b32_e32 v14, 16, v8
	v_cndmask_b32_e32 v13, v9, v3, vcc
	v_mul_f16_sdwa v3, v51, v14 dst_sel:DWORD dst_unused:UNUSED_PAD src0_sel:WORD_1 src1_sel:DWORD
	v_fma_f16 v3, v51, v8, v3
	v_cvt_f32_f16_e32 v3, v3
	v_cmp_ne_u32_e32 vcc, 0, v2
	v_cndmask_b32_e64 v2, 0, 1, vcc
	v_lshl_or_b32 v15, v2, 9, v9
	v_cvt_f64_f32_e32 v[2:3], v3
	v_cmp_eq_u32_e32 vcc, s10, v10
	v_cndmask_b32_e32 v10, v13, v15, vcc
	v_lshrrev_b32_e32 v11, 16, v11
	v_mul_f64 v[2:3], v[2:3], s[2:3]
	v_and_or_b32 v10, v11, s11, v10
	v_and_b32_e32 v11, 0xffff, v12
	v_lshl_or_b32 v12, v10, 16, v11
	v_add_co_u32_e32 v10, vcc, s4, v0
	v_addc_co_u32_e32 v11, vcc, v1, v5, vcc
	v_and_or_b32 v0, v3, s6, v2
	v_cmp_ne_u32_e32 vcc, 0, v0
	v_cndmask_b32_e64 v0, 0, 1, vcc
	v_lshrrev_b32_e32 v1, 8, v3
	global_store_dword v[10:11], v12, off
	v_and_or_b32 v12, v1, s7, v0
	v_bfe_u32 v1, v3, 20, 11
	v_sub_u32_e32 v2, 0x3f1, v1
	v_or_b32_e32 v0, 0x1000, v12
	v_med3_i32 v2, v2, 0, 13
	v_lshrrev_b32_e32 v13, v2, v0
	v_lshlrev_b32_e32 v2, v2, v13
	v_cmp_ne_u32_e32 vcc, v2, v0
	v_mul_f16_sdwa v2, v51, v8 dst_sel:DWORD dst_unused:UNUSED_PAD src0_sel:WORD_1 src1_sel:DWORD
	v_cndmask_b32_e64 v0, 0, 1, vcc
	v_fma_f16 v2, v51, v14, -v2
	v_or_b32_e32 v0, v13, v0
	v_add_u32_e32 v13, 0xfffffc10, v1
	v_cvt_f32_f16_e32 v2, v2
	v_lshl_or_b32 v1, v13, 12, v12
	v_cmp_gt_i32_e32 vcc, 1, v13
	v_cndmask_b32_e32 v0, v1, v0, vcc
	v_and_b32_e32 v1, 7, v0
	v_cmp_lt_i32_e32 vcc, 5, v1
	v_cmp_eq_u32_e64 s[0:1], 3, v1
	v_lshrrev_b32_e32 v8, 2, v0
	v_cvt_f64_f32_e32 v[0:1], v2
	s_or_b64 vcc, s[0:1], vcc
	v_addc_co_u32_e32 v2, vcc, 0, v8, vcc
	v_cmp_gt_i32_e32 vcc, 31, v13
	v_cndmask_b32_e32 v8, v9, v2, vcc
	v_mul_f64 v[1:2], v[0:1], s[2:3]
	v_cmp_ne_u32_e32 vcc, 0, v12
	v_cndmask_b32_e64 v0, 0, 1, vcc
	v_lshl_or_b32 v0, v0, 9, v9
	v_cmp_eq_u32_e32 vcc, s10, v13
	v_cndmask_b32_e32 v0, v8, v0, vcc
	v_lshrrev_b32_e32 v3, 16, v3
	v_and_or_b32 v8, v3, s11, v0
	v_and_or_b32 v0, v2, s6, v1
	v_cmp_ne_u32_e32 vcc, 0, v0
	v_cndmask_b32_e64 v0, 0, 1, vcc
	v_lshrrev_b32_e32 v1, 8, v2
	v_and_or_b32 v3, v1, s7, v0
	v_bfe_u32 v1, v2, 20, 11
	v_sub_u32_e32 v12, 0x3f1, v1
	v_or_b32_e32 v0, 0x1000, v3
	v_med3_i32 v12, v12, 0, 13
	v_lshrrev_b32_e32 v13, v12, v0
	v_lshlrev_b32_e32 v12, v12, v13
	v_cmp_ne_u32_e32 vcc, v12, v0
	v_cndmask_b32_e64 v0, 0, 1, vcc
	v_add_u32_e32 v14, 0xfffffc10, v1
	v_or_b32_e32 v0, v13, v0
	v_lshl_or_b32 v1, v14, 12, v3
	v_cmp_gt_i32_e32 vcc, 1, v14
	v_cndmask_b32_e32 v0, v1, v0, vcc
	v_and_b32_e32 v1, 7, v0
	v_cmp_lt_i32_e32 vcc, 5, v1
	v_cmp_eq_u32_e64 s[0:1], 3, v1
	v_lshrrev_b32_e32 v12, 2, v0
	ds_read2_b32 v[0:1], v38 offset0:208 offset1:224
	s_or_b64 vcc, s[0:1], vcc
	v_addc_co_u32_e32 v12, vcc, 0, v12, vcc
	v_cmp_gt_i32_e32 vcc, 31, v14
	s_waitcnt lgkmcnt(0)
	v_lshrrev_b32_e32 v16, 16, v1
	v_cndmask_b32_e32 v15, v9, v12, vcc
	v_mul_f16_sdwa v12, v53, v16 dst_sel:DWORD dst_unused:UNUSED_PAD src0_sel:WORD_1 src1_sel:DWORD
	v_fma_f16 v12, v53, v1, v12
	v_cvt_f32_f16_e32 v12, v12
	v_cmp_ne_u32_e32 vcc, 0, v3
	v_cndmask_b32_e64 v3, 0, 1, vcc
	v_lshl_or_b32 v3, v3, 9, v9
	v_cvt_f64_f32_e32 v[12:13], v12
	v_cmp_eq_u32_e32 vcc, s10, v14
	v_cndmask_b32_e32 v3, v15, v3, vcc
	v_lshrrev_b32_e32 v2, 16, v2
	v_and_or_b32 v14, v2, s11, v3
	v_mul_f64 v[2:3], v[12:13], s[2:3]
	v_add_co_u32_e32 v10, vcc, s4, v10
	v_and_b32_e32 v8, 0xffff, v8
	v_addc_co_u32_e32 v11, vcc, v11, v5, vcc
	v_lshl_or_b32 v8, v14, 16, v8
	global_store_dword v[10:11], v8, off
	v_and_or_b32 v2, v3, s6, v2
	v_cmp_ne_u32_e32 vcc, 0, v2
	v_cndmask_b32_e64 v2, 0, 1, vcc
	v_lshrrev_b32_e32 v8, 8, v3
	v_bfe_u32 v12, v3, 20, 11
	v_and_or_b32 v8, v8, s7, v2
	v_sub_u32_e32 v13, 0x3f1, v12
	v_or_b32_e32 v2, 0x1000, v8
	v_med3_i32 v13, v13, 0, 13
	v_lshrrev_b32_e32 v14, v13, v2
	v_lshlrev_b32_e32 v13, v13, v14
	v_cmp_ne_u32_e32 vcc, v13, v2
	v_mul_f16_sdwa v1, v53, v1 dst_sel:DWORD dst_unused:UNUSED_PAD src0_sel:WORD_1 src1_sel:DWORD
	v_cndmask_b32_e64 v2, 0, 1, vcc
	v_fma_f16 v1, v53, v16, -v1
	v_or_b32_e32 v2, v14, v2
	v_add_u32_e32 v14, 0xfffffc10, v12
	v_cvt_f32_f16_e32 v1, v1
	v_lshl_or_b32 v12, v14, 12, v8
	v_cmp_gt_i32_e32 vcc, 1, v14
	v_cndmask_b32_e32 v2, v12, v2, vcc
	v_and_b32_e32 v12, 7, v2
	v_cmp_lt_i32_e32 vcc, 5, v12
	v_cmp_eq_u32_e64 s[0:1], 3, v12
	v_lshrrev_b32_e32 v12, 2, v2
	v_cvt_f64_f32_e32 v[1:2], v1
	s_or_b64 vcc, s[0:1], vcc
	v_addc_co_u32_e32 v12, vcc, 0, v12, vcc
	v_cmp_gt_i32_e32 vcc, 31, v14
	v_cndmask_b32_e32 v15, v9, v12, vcc
	v_mul_f64 v[12:13], v[1:2], s[2:3]
	v_cmp_ne_u32_e32 vcc, 0, v8
	v_cndmask_b32_e64 v1, 0, 1, vcc
	v_lshl_or_b32 v1, v1, 9, v9
	v_cmp_eq_u32_e32 vcc, s10, v14
	v_cndmask_b32_e32 v1, v15, v1, vcc
	v_lshrrev_b32_e32 v2, 16, v3
	v_and_or_b32 v3, v2, s11, v1
	v_and_or_b32 v1, v13, s6, v12
	v_cmp_ne_u32_e32 vcc, 0, v1
	v_cndmask_b32_e64 v1, 0, 1, vcc
	v_lshrrev_b32_e32 v2, 8, v13
	v_and_or_b32 v8, v2, s7, v1
	v_bfe_u32 v2, v13, 20, 11
	v_sub_u32_e32 v12, 0x3f1, v2
	v_or_b32_e32 v1, 0x1000, v8
	v_med3_i32 v12, v12, 0, 13
	v_lshrrev_b32_e32 v14, v12, v1
	v_lshlrev_b32_e32 v12, v12, v14
	v_cmp_ne_u32_e32 vcc, v12, v1
	v_cndmask_b32_e64 v1, 0, 1, vcc
	v_add_u32_e32 v12, 0xfffffc10, v2
	v_or_b32_e32 v1, v14, v1
	v_lshl_or_b32 v2, v12, 12, v8
	v_cmp_gt_i32_e32 vcc, 1, v12
	v_cndmask_b32_e32 v1, v2, v1, vcc
	v_and_b32_e32 v2, 7, v1
	v_cmp_lt_i32_e32 vcc, 5, v2
	v_cmp_eq_u32_e64 s[0:1], 3, v2
	v_lshrrev_b32_e32 v14, 2, v1
	ds_read2_b32 v[1:2], v63 offset0:112 offset1:128
	s_or_b64 vcc, s[0:1], vcc
	v_addc_co_u32_e32 v14, vcc, 0, v14, vcc
	v_cmp_gt_i32_e32 vcc, 31, v12
	s_waitcnt lgkmcnt(0)
	v_lshrrev_b32_e32 v17, 16, v2
	v_cndmask_b32_e32 v16, v9, v14, vcc
	v_mul_f16_sdwa v14, v52, v17 dst_sel:DWORD dst_unused:UNUSED_PAD src0_sel:WORD_1 src1_sel:DWORD
	v_fma_f16 v14, v52, v2, v14
	v_cvt_f32_f16_e32 v14, v14
	v_cmp_ne_u32_e32 vcc, 0, v8
	v_cndmask_b32_e64 v8, 0, 1, vcc
	v_lshl_or_b32 v8, v8, 9, v9
	v_cvt_f64_f32_e32 v[14:15], v14
	v_cmp_eq_u32_e32 vcc, s10, v12
	v_cndmask_b32_e32 v8, v16, v8, vcc
	v_lshrrev_b32_e32 v12, 16, v13
	v_and_or_b32 v8, v12, s11, v8
	v_mul_f64 v[12:13], v[14:15], s[2:3]
	v_and_b32_e32 v3, 0xffff, v3
	v_add_co_u32_e32 v10, vcc, s4, v10
	v_lshl_or_b32 v3, v8, 16, v3
	v_addc_co_u32_e32 v11, vcc, v11, v5, vcc
	global_store_dword v[10:11], v3, off
	v_and_or_b32 v3, v13, s6, v12
	v_cmp_ne_u32_e32 vcc, 0, v3
	v_cndmask_b32_e64 v3, 0, 1, vcc
	v_lshrrev_b32_e32 v8, 8, v13
	v_bfe_u32 v12, v13, 20, 11
	v_and_or_b32 v8, v8, s7, v3
	v_sub_u32_e32 v14, 0x3f1, v12
	v_or_b32_e32 v3, 0x1000, v8
	v_med3_i32 v14, v14, 0, 13
	v_lshrrev_b32_e32 v15, v14, v3
	v_lshlrev_b32_e32 v14, v14, v15
	v_mul_f16_sdwa v2, v52, v2 dst_sel:DWORD dst_unused:UNUSED_PAD src0_sel:WORD_1 src1_sel:DWORD
	v_cmp_ne_u32_e32 vcc, v14, v3
	v_fma_f16 v2, v52, v17, -v2
	v_cndmask_b32_e64 v3, 0, 1, vcc
	v_add_u32_e32 v12, 0xfffffc10, v12
	v_cvt_f32_f16_e32 v2, v2
	v_or_b32_e32 v3, v15, v3
	v_lshl_or_b32 v14, v12, 12, v8
	v_cmp_gt_i32_e32 vcc, 1, v12
	v_cndmask_b32_e32 v3, v14, v3, vcc
	v_and_b32_e32 v14, 7, v3
	v_cmp_lt_i32_e32 vcc, 5, v14
	v_cmp_eq_u32_e64 s[0:1], 3, v14
	v_lshrrev_b32_e32 v14, 2, v3
	v_cvt_f64_f32_e32 v[2:3], v2
	s_or_b64 vcc, s[0:1], vcc
	v_addc_co_u32_e32 v14, vcc, 0, v14, vcc
	v_cmp_gt_i32_e32 vcc, 31, v12
	v_cndmask_b32_e32 v16, v9, v14, vcc
	v_mul_f64 v[14:15], v[2:3], s[2:3]
	v_cmp_ne_u32_e32 vcc, 0, v8
	v_cndmask_b32_e64 v2, 0, 1, vcc
	v_lshl_or_b32 v2, v2, 9, v9
	v_cmp_eq_u32_e32 vcc, s10, v12
	v_cndmask_b32_e32 v2, v16, v2, vcc
	v_lshrrev_b32_e32 v3, 16, v13
	v_and_or_b32 v8, v3, s11, v2
	v_and_or_b32 v2, v15, s6, v14
	v_cmp_ne_u32_e32 vcc, 0, v2
	v_cndmask_b32_e64 v2, 0, 1, vcc
	v_lshrrev_b32_e32 v3, 8, v15
	v_and_or_b32 v12, v3, s7, v2
	v_bfe_u32 v3, v15, 20, 11
	v_sub_u32_e32 v13, 0x3f1, v3
	v_or_b32_e32 v2, 0x1000, v12
	v_med3_i32 v13, v13, 0, 13
	v_lshrrev_b32_e32 v14, v13, v2
	v_lshlrev_b32_e32 v13, v13, v14
	v_cmp_ne_u32_e32 vcc, v13, v2
	v_cndmask_b32_e64 v2, 0, 1, vcc
	v_or_b32_e32 v2, v14, v2
	v_add_u32_e32 v14, 0xfffffc10, v3
	v_lshl_or_b32 v3, v14, 12, v12
	v_cmp_gt_i32_e32 vcc, 1, v14
	v_cndmask_b32_e32 v2, v3, v2, vcc
	v_and_b32_e32 v3, 7, v2
	v_cmp_lt_i32_e32 vcc, 5, v3
	v_cmp_eq_u32_e64 s[0:1], 3, v3
	v_lshrrev_b32_e32 v13, 2, v2
	ds_read2_b32 v[2:3], v55 offset0:16 offset1:32
	s_or_b64 vcc, s[0:1], vcc
	v_addc_co_u32_e32 v13, vcc, 0, v13, vcc
	v_cmp_gt_i32_e32 vcc, 31, v14
	s_waitcnt lgkmcnt(0)
	v_lshrrev_b32_e32 v17, 16, v3
	v_cndmask_b32_e32 v16, v9, v13, vcc
	v_mul_f16_sdwa v13, v50, v17 dst_sel:DWORD dst_unused:UNUSED_PAD src0_sel:WORD_1 src1_sel:DWORD
	v_fma_f16 v13, v50, v3, v13
	v_cvt_f32_f16_e32 v13, v13
	v_cmp_ne_u32_e32 vcc, 0, v12
	v_cndmask_b32_e64 v12, 0, 1, vcc
	v_lshl_or_b32 v18, v12, 9, v9
	v_cvt_f64_f32_e32 v[12:13], v13
	v_cmp_eq_u32_e32 vcc, s10, v14
	v_cndmask_b32_e32 v14, v16, v18, vcc
	v_lshrrev_b32_e32 v15, 16, v15
	v_mul_f64 v[12:13], v[12:13], s[2:3]
	v_and_or_b32 v14, v15, s11, v14
	v_and_b32_e32 v8, 0xffff, v8
	v_add_co_u32_e32 v10, vcc, s4, v10
	v_lshl_or_b32 v8, v14, 16, v8
	v_addc_co_u32_e32 v11, vcc, v11, v5, vcc
	global_store_dword v[10:11], v8, off
	v_and_or_b32 v8, v13, s6, v12
	v_cmp_ne_u32_e32 vcc, 0, v8
	v_cndmask_b32_e64 v8, 0, 1, vcc
	v_lshrrev_b32_e32 v12, 8, v13
	v_bfe_u32 v14, v13, 20, 11
	v_and_or_b32 v8, v12, s7, v8
	v_sub_u32_e32 v15, 0x3f1, v14
	v_or_b32_e32 v12, 0x1000, v8
	v_med3_i32 v15, v15, 0, 13
	v_lshrrev_b32_e32 v16, v15, v12
	v_lshlrev_b32_e32 v15, v15, v16
	v_cmp_ne_u32_e32 vcc, v15, v12
	v_mul_f16_sdwa v3, v50, v3 dst_sel:DWORD dst_unused:UNUSED_PAD src0_sel:WORD_1 src1_sel:DWORD
	v_cndmask_b32_e64 v12, 0, 1, vcc
	v_fma_f16 v3, v50, v17, -v3
	v_or_b32_e32 v12, v16, v12
	v_add_u32_e32 v16, 0xfffffc10, v14
	v_cvt_f32_f16_e32 v3, v3
	v_lshl_or_b32 v14, v16, 12, v8
	v_cmp_gt_i32_e32 vcc, 1, v16
	v_cndmask_b32_e32 v12, v14, v12, vcc
	v_and_b32_e32 v14, 7, v12
	v_cmp_lt_i32_e32 vcc, 5, v14
	v_cmp_eq_u32_e64 s[0:1], 3, v14
	v_cvt_f64_f32_e32 v[14:15], v3
	v_lshrrev_b32_e32 v12, 2, v12
	s_or_b64 vcc, s[0:1], vcc
	v_addc_co_u32_e32 v3, vcc, 0, v12, vcc
	v_mul_f64 v[14:15], v[14:15], s[2:3]
	v_cmp_gt_i32_e32 vcc, 31, v16
	v_cndmask_b32_e32 v3, v9, v3, vcc
	v_cmp_ne_u32_e32 vcc, 0, v8
	v_cndmask_b32_e64 v8, 0, 1, vcc
	v_lshl_or_b32 v8, v8, 9, v9
	v_cmp_eq_u32_e32 vcc, s10, v16
	v_cndmask_b32_e32 v3, v3, v8, vcc
	v_lshrrev_b32_e32 v8, 16, v13
	v_and_or_b32 v3, v8, s11, v3
	v_and_or_b32 v8, v15, s6, v14
	v_cmp_ne_u32_e32 vcc, 0, v8
	v_cndmask_b32_e64 v8, 0, 1, vcc
	v_lshrrev_b32_e32 v12, 8, v15
	v_bfe_u32 v13, v15, 20, 11
	v_and_or_b32 v8, v12, s7, v8
	v_sub_u32_e32 v14, 0x3f1, v13
	v_or_b32_e32 v12, 0x1000, v8
	v_med3_i32 v14, v14, 0, 13
	v_lshrrev_b32_e32 v16, v14, v12
	v_lshlrev_b32_e32 v14, v14, v16
	v_cmp_ne_u32_e32 vcc, v14, v12
	v_cndmask_b32_e64 v12, 0, 1, vcc
	v_add_u32_e32 v14, 0xfffffc10, v13
	v_or_b32_e32 v12, v16, v12
	v_lshl_or_b32 v13, v14, 12, v8
	v_cmp_gt_i32_e32 vcc, 1, v14
	v_cndmask_b32_e32 v12, v13, v12, vcc
	v_and_b32_e32 v13, 7, v12
	v_cmp_lt_i32_e32 vcc, 5, v13
	v_cmp_eq_u32_e64 s[0:1], 3, v13
	v_lshrrev_b32_e32 v12, 2, v12
	s_or_b64 vcc, s[0:1], vcc
	v_addc_co_u32_e32 v12, vcc, 0, v12, vcc
	v_cmp_gt_i32_e32 vcc, 31, v14
	v_lshrrev_b32_e32 v17, 16, v4
	v_cndmask_b32_e32 v16, v9, v12, vcc
	v_mul_f16_sdwa v12, v48, v17 dst_sel:DWORD dst_unused:UNUSED_PAD src0_sel:WORD_1 src1_sel:DWORD
	v_fma_f16 v12, v48, v4, v12
	v_cvt_f32_f16_e32 v12, v12
	v_cmp_ne_u32_e32 vcc, 0, v8
	v_cndmask_b32_e64 v8, 0, 1, vcc
	v_lshl_or_b32 v8, v8, 9, v9
	v_cvt_f64_f32_e32 v[12:13], v12
	v_cmp_eq_u32_e32 vcc, s10, v14
	v_cndmask_b32_e32 v8, v16, v8, vcc
	v_lshrrev_b32_e32 v14, 16, v15
	v_mul_f64 v[12:13], v[12:13], s[2:3]
	v_and_or_b32 v8, v14, s11, v8
	v_and_b32_e32 v3, 0xffff, v3
	v_add_co_u32_e32 v10, vcc, s4, v10
	v_lshl_or_b32 v3, v8, 16, v3
	v_addc_co_u32_e32 v11, vcc, v11, v5, vcc
	global_store_dword v[10:11], v3, off
	v_and_or_b32 v3, v13, s6, v12
	v_cmp_ne_u32_e32 vcc, 0, v3
	v_cndmask_b32_e64 v3, 0, 1, vcc
	v_lshrrev_b32_e32 v8, 8, v13
	v_bfe_u32 v12, v13, 20, 11
	v_and_or_b32 v8, v8, s7, v3
	v_sub_u32_e32 v14, 0x3f1, v12
	v_or_b32_e32 v3, 0x1000, v8
	v_med3_i32 v14, v14, 0, 13
	v_lshrrev_b32_e32 v15, v14, v3
	v_lshlrev_b32_e32 v14, v14, v15
	v_mul_f16_sdwa v4, v48, v4 dst_sel:DWORD dst_unused:UNUSED_PAD src0_sel:WORD_1 src1_sel:DWORD
	v_cmp_ne_u32_e32 vcc, v14, v3
	v_fma_f16 v4, v48, v17, -v4
	v_cndmask_b32_e64 v3, 0, 1, vcc
	v_add_u32_e32 v12, 0xfffffc10, v12
	v_cvt_f32_f16_e32 v4, v4
	v_or_b32_e32 v3, v15, v3
	v_lshl_or_b32 v14, v12, 12, v8
	v_cmp_gt_i32_e32 vcc, 1, v12
	v_cndmask_b32_e32 v3, v14, v3, vcc
	v_and_b32_e32 v14, 7, v3
	v_cmp_lt_i32_e32 vcc, 5, v14
	v_cmp_eq_u32_e64 s[0:1], 3, v14
	v_lshrrev_b32_e32 v14, 2, v3
	v_cvt_f64_f32_e32 v[3:4], v4
	s_or_b64 vcc, s[0:1], vcc
	v_addc_co_u32_e32 v14, vcc, 0, v14, vcc
	v_mul_f64 v[3:4], v[3:4], s[2:3]
	v_cmp_gt_i32_e32 vcc, 31, v12
	v_cndmask_b32_e32 v14, v9, v14, vcc
	v_cmp_ne_u32_e32 vcc, 0, v8
	v_cndmask_b32_e64 v8, 0, 1, vcc
	v_lshl_or_b32 v8, v8, 9, v9
	v_cmp_eq_u32_e32 vcc, s10, v12
	v_cndmask_b32_e32 v8, v14, v8, vcc
	v_and_or_b32 v3, v4, s6, v3
	v_lshrrev_b32_e32 v12, 16, v13
	v_cmp_ne_u32_e32 vcc, 0, v3
	v_and_or_b32 v8, v12, s11, v8
	v_cndmask_b32_e64 v3, 0, 1, vcc
	v_lshrrev_b32_e32 v12, 8, v4
	v_bfe_u32 v13, v4, 20, 11
	v_and_or_b32 v3, v12, s7, v3
	v_sub_u32_e32 v14, 0x3f1, v13
	v_or_b32_e32 v12, 0x1000, v3
	v_med3_i32 v14, v14, 0, 13
	v_lshrrev_b32_e32 v15, v14, v12
	v_lshlrev_b32_e32 v14, v14, v15
	v_cmp_ne_u32_e32 vcc, v14, v12
	v_cndmask_b32_e64 v12, 0, 1, vcc
	v_add_u32_e32 v13, 0xfffffc10, v13
	v_or_b32_e32 v12, v15, v12
	v_lshl_or_b32 v14, v13, 12, v3
	v_cmp_gt_i32_e32 vcc, 1, v13
	v_cndmask_b32_e32 v12, v14, v12, vcc
	v_and_b32_e32 v14, 7, v12
	v_cmp_lt_i32_e32 vcc, 5, v14
	v_cmp_eq_u32_e64 s[0:1], 3, v14
	v_lshrrev_b32_e32 v14, 16, v6
	v_lshrrev_b32_e32 v12, 2, v12
	s_or_b64 vcc, s[0:1], vcc
	v_mul_f16_sdwa v15, v47, v14 dst_sel:DWORD dst_unused:UNUSED_PAD src0_sel:WORD_1 src1_sel:DWORD
	v_addc_co_u32_e32 v12, vcc, 0, v12, vcc
	v_fma_f16 v15, v47, v6, v15
	v_cmp_gt_i32_e32 vcc, 31, v13
	v_cvt_f32_f16_e32 v15, v15
	v_cndmask_b32_e32 v12, v9, v12, vcc
	v_cmp_ne_u32_e32 vcc, 0, v3
	v_cndmask_b32_e64 v3, 0, 1, vcc
	v_lshl_or_b32 v3, v3, 9, v9
	v_cmp_eq_u32_e32 vcc, s10, v13
	v_cndmask_b32_e32 v3, v12, v3, vcc
	v_cvt_f64_f32_e32 v[12:13], v15
	v_lshrrev_b32_e32 v4, 16, v4
	v_and_or_b32 v15, v4, s11, v3
	v_mad_u64_u32 v[10:11], s[0:1], s8, v49, v[10:11]
	v_mul_f64 v[3:4], v[12:13], s[2:3]
	s_mul_i32 s0, s9, 0xfffffbc0
	v_and_b32_e32 v8, 0xffff, v8
	s_sub_i32 s0, s0, s8
	v_lshl_or_b32 v8, v15, 16, v8
	v_add_u32_e32 v11, s0, v11
	global_store_dword v[10:11], v8, off
	v_mul_f16_sdwa v6, v47, v6 dst_sel:DWORD dst_unused:UNUSED_PAD src0_sel:WORD_1 src1_sel:DWORD
	v_and_or_b32 v3, v4, s6, v3
	v_cmp_ne_u32_e32 vcc, 0, v3
	v_cndmask_b32_e64 v3, 0, 1, vcc
	v_lshrrev_b32_e32 v8, 8, v4
	v_bfe_u32 v12, v4, 20, 11
	v_and_or_b32 v3, v8, s7, v3
	v_sub_u32_e32 v13, 0x3f1, v12
	v_or_b32_e32 v8, 0x1000, v3
	v_med3_i32 v13, v13, 0, 13
	v_lshrrev_b32_e32 v15, v13, v8
	v_lshlrev_b32_e32 v13, v13, v15
	v_cmp_ne_u32_e32 vcc, v13, v8
	v_cndmask_b32_e64 v8, 0, 1, vcc
	v_fma_f16 v6, v47, v14, -v6
	v_or_b32_e32 v8, v15, v8
	v_add_u32_e32 v15, 0xfffffc10, v12
	v_cvt_f32_f16_e32 v6, v6
	v_lshl_or_b32 v12, v15, 12, v3
	v_cmp_gt_i32_e32 vcc, 1, v15
	v_cndmask_b32_e32 v8, v12, v8, vcc
	v_and_b32_e32 v12, 7, v8
	v_cmp_lt_i32_e32 vcc, 5, v12
	v_cmp_eq_u32_e64 s[0:1], 3, v12
	v_cvt_f64_f32_e32 v[12:13], v6
	v_lshrrev_b32_e32 v8, 2, v8
	s_or_b64 vcc, s[0:1], vcc
	v_addc_co_u32_e32 v6, vcc, 0, v8, vcc
	v_mul_f64 v[12:13], v[12:13], s[2:3]
	v_cmp_gt_i32_e32 vcc, 31, v15
	v_cndmask_b32_e32 v6, v9, v6, vcc
	v_cmp_ne_u32_e32 vcc, 0, v3
	v_cndmask_b32_e64 v3, 0, 1, vcc
	v_lshl_or_b32 v3, v3, 9, v9
	v_cmp_eq_u32_e32 vcc, s10, v15
	v_cndmask_b32_e32 v3, v6, v3, vcc
	v_lshrrev_b32_e32 v4, 16, v4
	v_and_or_b32 v6, v4, s11, v3
	v_and_or_b32 v3, v13, s6, v12
	v_cmp_ne_u32_e32 vcc, 0, v3
	v_cndmask_b32_e64 v3, 0, 1, vcc
	v_lshrrev_b32_e32 v4, 8, v13
	v_and_or_b32 v8, v4, s7, v3
	v_bfe_u32 v4, v13, 20, 11
	v_sub_u32_e32 v12, 0x3f1, v4
	v_or_b32_e32 v3, 0x1000, v8
	v_med3_i32 v12, v12, 0, 13
	v_lshrrev_b32_e32 v14, v12, v3
	v_lshlrev_b32_e32 v12, v12, v14
	v_cmp_ne_u32_e32 vcc, v12, v3
	v_cndmask_b32_e64 v3, 0, 1, vcc
	v_add_u32_e32 v12, 0xfffffc10, v4
	v_or_b32_e32 v3, v14, v3
	v_lshl_or_b32 v4, v12, 12, v8
	v_cmp_gt_i32_e32 vcc, 1, v12
	v_cndmask_b32_e32 v3, v4, v3, vcc
	v_and_b32_e32 v4, 7, v3
	v_cmp_lt_i32_e32 vcc, 5, v4
	v_cmp_eq_u32_e64 s[0:1], 3, v4
	v_lshrrev_b32_e32 v14, 2, v3
	ds_read2_b32 v[3:4], v38 offset0:80 offset1:112
	s_or_b64 vcc, s[0:1], vcc
	v_addc_co_u32_e32 v14, vcc, 0, v14, vcc
	v_cmp_gt_i32_e32 vcc, 31, v12
	s_waitcnt lgkmcnt(0)
	v_lshrrev_b32_e32 v17, 16, v3
	v_cndmask_b32_e32 v16, v9, v14, vcc
	v_mul_f16_sdwa v14, v46, v17 dst_sel:DWORD dst_unused:UNUSED_PAD src0_sel:WORD_1 src1_sel:DWORD
	v_fma_f16 v14, v46, v3, v14
	v_cvt_f32_f16_e32 v14, v14
	v_cmp_ne_u32_e32 vcc, 0, v8
	v_cndmask_b32_e64 v8, 0, 1, vcc
	v_lshl_or_b32 v8, v8, 9, v9
	v_cvt_f64_f32_e32 v[14:15], v14
	v_cmp_eq_u32_e32 vcc, s10, v12
	v_cndmask_b32_e32 v8, v16, v8, vcc
	v_lshrrev_b32_e32 v12, 16, v13
	v_and_or_b32 v8, v12, s11, v8
	v_mul_f64 v[12:13], v[14:15], s[2:3]
	v_and_b32_e32 v6, 0xffff, v6
	v_add_co_u32_e32 v10, vcc, s4, v10
	v_lshl_or_b32 v6, v8, 16, v6
	v_addc_co_u32_e32 v11, vcc, v11, v5, vcc
	global_store_dword v[10:11], v6, off
	v_and_or_b32 v6, v13, s6, v12
	v_cmp_ne_u32_e32 vcc, 0, v6
	v_cndmask_b32_e64 v6, 0, 1, vcc
	v_lshrrev_b32_e32 v8, 8, v13
	v_bfe_u32 v12, v13, 20, 11
	v_and_or_b32 v6, v8, s7, v6
	v_sub_u32_e32 v14, 0x3f1, v12
	v_or_b32_e32 v8, 0x1000, v6
	v_med3_i32 v14, v14, 0, 13
	v_lshrrev_b32_e32 v15, v14, v8
	v_lshlrev_b32_e32 v14, v14, v15
	v_mul_f16_sdwa v3, v46, v3 dst_sel:DWORD dst_unused:UNUSED_PAD src0_sel:WORD_1 src1_sel:DWORD
	v_cmp_ne_u32_e32 vcc, v14, v8
	v_fma_f16 v3, v46, v17, -v3
	v_cndmask_b32_e64 v8, 0, 1, vcc
	v_add_u32_e32 v12, 0xfffffc10, v12
	v_cvt_f32_f16_e32 v3, v3
	v_or_b32_e32 v8, v15, v8
	v_lshl_or_b32 v14, v12, 12, v6
	v_cmp_gt_i32_e32 vcc, 1, v12
	v_cndmask_b32_e32 v8, v14, v8, vcc
	v_and_b32_e32 v14, 7, v8
	v_cmp_lt_i32_e32 vcc, 5, v14
	v_cmp_eq_u32_e64 s[0:1], 3, v14
	v_cvt_f64_f32_e32 v[14:15], v3
	v_lshrrev_b32_e32 v8, 2, v8
	s_or_b64 vcc, s[0:1], vcc
	v_addc_co_u32_e32 v3, vcc, 0, v8, vcc
	v_mul_f64 v[14:15], v[14:15], s[2:3]
	v_cmp_gt_i32_e32 vcc, 31, v12
	v_cndmask_b32_e32 v3, v9, v3, vcc
	v_cmp_ne_u32_e32 vcc, 0, v6
	v_cndmask_b32_e64 v6, 0, 1, vcc
	v_lshl_or_b32 v6, v6, 9, v9
	v_cmp_eq_u32_e32 vcc, s10, v12
	v_cndmask_b32_e32 v3, v3, v6, vcc
	v_lshrrev_b32_e32 v6, 16, v13
	v_and_or_b32 v3, v6, s11, v3
	v_and_or_b32 v6, v15, s6, v14
	v_cmp_ne_u32_e32 vcc, 0, v6
	v_cndmask_b32_e64 v6, 0, 1, vcc
	v_lshrrev_b32_e32 v8, 8, v15
	v_bfe_u32 v12, v15, 20, 11
	v_and_or_b32 v6, v8, s7, v6
	v_sub_u32_e32 v13, 0x3f1, v12
	v_or_b32_e32 v8, 0x1000, v6
	v_med3_i32 v13, v13, 0, 13
	v_lshrrev_b32_e32 v14, v13, v8
	v_lshlrev_b32_e32 v13, v13, v14
	v_cmp_ne_u32_e32 vcc, v13, v8
	v_cndmask_b32_e64 v8, 0, 1, vcc
	v_or_b32_e32 v8, v14, v8
	v_add_u32_e32 v14, 0xfffffc10, v12
	v_lshl_or_b32 v12, v14, 12, v6
	v_cmp_gt_i32_e32 vcc, 1, v14
	v_cndmask_b32_e32 v8, v12, v8, vcc
	v_and_b32_e32 v12, 7, v8
	v_lshrrev_b32_e32 v16, 16, v4
	v_cmp_lt_i32_e32 vcc, 5, v12
	v_cmp_eq_u32_e64 s[0:1], 3, v12
	v_mul_f16_sdwa v12, v44, v16 dst_sel:DWORD dst_unused:UNUSED_PAD src0_sel:WORD_1 src1_sel:DWORD
	v_fma_f16 v12, v44, v4, v12
	v_cvt_f32_f16_e32 v12, v12
	v_lshrrev_b32_e32 v8, 2, v8
	s_or_b64 vcc, s[0:1], vcc
	v_addc_co_u32_e32 v8, vcc, 0, v8, vcc
	v_cvt_f64_f32_e32 v[12:13], v12
	v_cmp_gt_i32_e32 vcc, 31, v14
	v_cndmask_b32_e32 v8, v9, v8, vcc
	v_cmp_ne_u32_e32 vcc, 0, v6
	v_mul_f64 v[12:13], v[12:13], s[2:3]
	v_cndmask_b32_e64 v6, 0, 1, vcc
	v_lshl_or_b32 v6, v6, 9, v9
	v_cmp_eq_u32_e32 vcc, s10, v14
	v_cndmask_b32_e32 v6, v8, v6, vcc
	v_lshrrev_b32_e32 v8, 16, v15
	v_and_or_b32 v6, v8, s11, v6
	v_and_b32_e32 v3, 0xffff, v3
	v_add_co_u32_e32 v10, vcc, s4, v10
	v_lshl_or_b32 v3, v6, 16, v3
	v_addc_co_u32_e32 v11, vcc, v11, v5, vcc
	global_store_dword v[10:11], v3, off
	v_and_or_b32 v3, v13, s6, v12
	v_cmp_ne_u32_e32 vcc, 0, v3
	v_cndmask_b32_e64 v3, 0, 1, vcc
	v_lshrrev_b32_e32 v6, 8, v13
	v_bfe_u32 v8, v13, 20, 11
	v_and_or_b32 v6, v6, s7, v3
	v_sub_u32_e32 v12, 0x3f1, v8
	v_or_b32_e32 v3, 0x1000, v6
	v_med3_i32 v12, v12, 0, 13
	v_lshrrev_b32_e32 v14, v12, v3
	v_lshlrev_b32_e32 v12, v12, v14
	v_mul_f16_sdwa v4, v44, v4 dst_sel:DWORD dst_unused:UNUSED_PAD src0_sel:WORD_1 src1_sel:DWORD
	v_cmp_ne_u32_e32 vcc, v12, v3
	v_fma_f16 v4, v44, v16, -v4
	v_cndmask_b32_e64 v3, 0, 1, vcc
	v_add_u32_e32 v8, 0xfffffc10, v8
	v_cvt_f32_f16_e32 v4, v4
	v_or_b32_e32 v3, v14, v3
	v_lshl_or_b32 v12, v8, 12, v6
	v_cmp_gt_i32_e32 vcc, 1, v8
	v_cndmask_b32_e32 v3, v12, v3, vcc
	v_and_b32_e32 v12, 7, v3
	v_cmp_lt_i32_e32 vcc, 5, v12
	v_cmp_eq_u32_e64 s[0:1], 3, v12
	v_lshrrev_b32_e32 v12, 2, v3
	v_cvt_f64_f32_e32 v[3:4], v4
	s_or_b64 vcc, s[0:1], vcc
	v_addc_co_u32_e32 v12, vcc, 0, v12, vcc
	v_mul_f64 v[3:4], v[3:4], s[2:3]
	v_cmp_gt_i32_e32 vcc, 31, v8
	v_cndmask_b32_e32 v12, v9, v12, vcc
	v_cmp_ne_u32_e32 vcc, 0, v6
	v_cndmask_b32_e64 v6, 0, 1, vcc
	v_lshl_or_b32 v6, v6, 9, v9
	v_cmp_eq_u32_e32 vcc, s10, v8
	v_cndmask_b32_e32 v6, v12, v6, vcc
	v_and_or_b32 v3, v4, s6, v3
	v_lshrrev_b32_e32 v8, 16, v13
	v_cmp_ne_u32_e32 vcc, 0, v3
	v_and_or_b32 v6, v8, s11, v6
	v_cndmask_b32_e64 v3, 0, 1, vcc
	v_lshrrev_b32_e32 v8, 8, v4
	v_bfe_u32 v12, v4, 20, 11
	v_and_or_b32 v3, v8, s7, v3
	v_sub_u32_e32 v13, 0x3f1, v12
	v_or_b32_e32 v8, 0x1000, v3
	v_med3_i32 v13, v13, 0, 13
	v_lshrrev_b32_e32 v14, v13, v8
	v_lshlrev_b32_e32 v13, v13, v14
	v_cmp_ne_u32_e32 vcc, v13, v8
	v_cndmask_b32_e64 v8, 0, 1, vcc
	v_or_b32_e32 v8, v14, v8
	v_add_u32_e32 v14, 0xfffffc10, v12
	v_lshl_or_b32 v12, v14, 12, v3
	v_cmp_gt_i32_e32 vcc, 1, v14
	v_cndmask_b32_e32 v8, v12, v8, vcc
	v_and_b32_e32 v12, 7, v8
	v_lshrrev_b32_e32 v15, 16, v7
	v_cmp_lt_i32_e32 vcc, 5, v12
	v_cmp_eq_u32_e64 s[0:1], 3, v12
	v_mul_f16_sdwa v12, v45, v15 dst_sel:DWORD dst_unused:UNUSED_PAD src0_sel:WORD_1 src1_sel:DWORD
	v_fma_f16 v12, v45, v7, v12
	v_cvt_f32_f16_e32 v12, v12
	v_lshrrev_b32_e32 v8, 2, v8
	s_or_b64 vcc, s[0:1], vcc
	v_addc_co_u32_e32 v8, vcc, 0, v8, vcc
	v_cmp_gt_i32_e32 vcc, 31, v14
	v_cndmask_b32_e32 v8, v9, v8, vcc
	v_cmp_ne_u32_e32 vcc, 0, v3
	v_cvt_f64_f32_e32 v[12:13], v12
	v_cndmask_b32_e64 v3, 0, 1, vcc
	v_lshl_or_b32 v3, v3, 9, v9
	v_cmp_eq_u32_e32 vcc, s10, v14
	v_cndmask_b32_e32 v3, v8, v3, vcc
	v_lshrrev_b32_e32 v4, 16, v4
	v_and_or_b32 v8, v4, s11, v3
	v_mul_f64 v[3:4], v[12:13], s[2:3]
	v_add_co_u32_e32 v10, vcc, s4, v10
	v_and_b32_e32 v6, 0xffff, v6
	v_addc_co_u32_e32 v11, vcc, v11, v5, vcc
	v_lshl_or_b32 v6, v8, 16, v6
	global_store_dword v[10:11], v6, off
	v_and_or_b32 v3, v4, s6, v3
	v_cmp_ne_u32_e32 vcc, 0, v3
	v_cndmask_b32_e64 v3, 0, 1, vcc
	v_lshrrev_b32_e32 v6, 8, v4
	v_bfe_u32 v8, v4, 20, 11
	v_and_or_b32 v3, v6, s7, v3
	v_sub_u32_e32 v12, 0x3f1, v8
	v_or_b32_e32 v6, 0x1000, v3
	v_med3_i32 v12, v12, 0, 13
	v_lshrrev_b32_e32 v13, v12, v6
	v_lshlrev_b32_e32 v12, v12, v13
	v_mul_f16_sdwa v7, v45, v7 dst_sel:DWORD dst_unused:UNUSED_PAD src0_sel:WORD_1 src1_sel:DWORD
	v_cmp_ne_u32_e32 vcc, v12, v6
	v_fma_f16 v7, v45, v15, -v7
	v_cndmask_b32_e64 v6, 0, 1, vcc
	v_add_u32_e32 v8, 0xfffffc10, v8
	v_cvt_f32_f16_e32 v7, v7
	v_or_b32_e32 v6, v13, v6
	v_lshl_or_b32 v12, v8, 12, v3
	v_cmp_gt_i32_e32 vcc, 1, v8
	v_cndmask_b32_e32 v6, v12, v6, vcc
	v_and_b32_e32 v12, 7, v6
	v_cmp_lt_i32_e32 vcc, 5, v12
	v_cmp_eq_u32_e64 s[0:1], 3, v12
	v_lshrrev_b32_e32 v12, 2, v6
	v_cvt_f64_f32_e32 v[6:7], v7
	s_or_b64 vcc, s[0:1], vcc
	v_addc_co_u32_e32 v12, vcc, 0, v12, vcc
	v_mul_f64 v[6:7], v[6:7], s[2:3]
	v_cmp_gt_i32_e32 vcc, 31, v8
	v_cndmask_b32_e32 v12, v9, v12, vcc
	v_cmp_ne_u32_e32 vcc, 0, v3
	v_cndmask_b32_e64 v3, 0, 1, vcc
	v_lshl_or_b32 v3, v3, 9, v9
	v_cmp_eq_u32_e32 vcc, s10, v8
	v_cndmask_b32_e32 v3, v12, v3, vcc
	v_lshrrev_b32_e32 v4, 16, v4
	v_and_or_b32 v8, v4, s11, v3
	v_and_or_b32 v3, v7, s6, v6
	v_cmp_ne_u32_e32 vcc, 0, v3
	v_cndmask_b32_e64 v3, 0, 1, vcc
	v_lshrrev_b32_e32 v4, 8, v7
	v_bfe_u32 v6, v7, 20, 11
	v_and_or_b32 v3, v4, s7, v3
	v_sub_u32_e32 v12, 0x3f1, v6
	v_or_b32_e32 v4, 0x1000, v3
	v_med3_i32 v12, v12, 0, 13
	v_lshrrev_b32_e32 v13, v12, v4
	v_lshlrev_b32_e32 v12, v12, v13
	v_cmp_ne_u32_e32 vcc, v12, v4
	v_cndmask_b32_e64 v4, 0, 1, vcc
	v_add_u32_e32 v6, 0xfffffc10, v6
	v_or_b32_e32 v4, v13, v4
	v_lshl_or_b32 v12, v6, 12, v3
	v_cmp_gt_i32_e32 vcc, 1, v6
	v_cndmask_b32_e32 v4, v12, v4, vcc
	v_and_b32_e32 v12, 7, v4
	v_cmp_lt_i32_e32 vcc, 5, v12
	v_cmp_eq_u32_e64 s[0:1], 3, v12
	ds_read_b32 v12, v43 offset:704
	ds_read_b32 v14, v38 offset:1216
	v_lshrrev_b32_e32 v4, 2, v4
	s_or_b64 vcc, s[0:1], vcc
	v_addc_co_u32_e32 v4, vcc, 0, v4, vcc
	v_cmp_gt_i32_e32 vcc, 31, v6
	s_waitcnt lgkmcnt(1)
	v_lshrrev_b32_e32 v15, 16, v12
	v_cndmask_b32_e32 v13, v9, v4, vcc
	v_mul_f16_sdwa v4, v42, v15 dst_sel:DWORD dst_unused:UNUSED_PAD src0_sel:WORD_1 src1_sel:DWORD
	v_fma_f16 v4, v42, v12, v4
	v_cvt_f32_f16_e32 v4, v4
	v_cmp_ne_u32_e32 vcc, 0, v3
	v_cndmask_b32_e64 v3, 0, 1, vcc
	v_lshl_or_b32 v16, v3, 9, v9
	v_cvt_f64_f32_e32 v[3:4], v4
	v_cmp_eq_u32_e32 vcc, s10, v6
	v_cndmask_b32_e32 v6, v13, v16, vcc
	v_lshrrev_b32_e32 v7, 16, v7
	v_mul_f64 v[3:4], v[3:4], s[2:3]
	v_and_or_b32 v6, v7, s11, v6
	v_and_b32_e32 v7, 0xffff, v8
	v_lshl_or_b32 v8, v6, 16, v7
	v_add_co_u32_e32 v6, vcc, s4, v10
	v_addc_co_u32_e32 v7, vcc, v11, v5, vcc
	v_and_or_b32 v3, v4, s6, v3
	v_cmp_ne_u32_e32 vcc, 0, v3
	global_store_dword v[6:7], v8, off
	v_cndmask_b32_e64 v3, 0, 1, vcc
	v_lshrrev_b32_e32 v8, 8, v4
	v_bfe_u32 v10, v4, 20, 11
	v_and_or_b32 v3, v8, s7, v3
	v_sub_u32_e32 v11, 0x3f1, v10
	v_or_b32_e32 v8, 0x1000, v3
	v_med3_i32 v11, v11, 0, 13
	v_lshrrev_b32_e32 v13, v11, v8
	v_lshlrev_b32_e32 v11, v11, v13
	v_cmp_ne_u32_e32 vcc, v11, v8
	v_mul_f16_sdwa v11, v42, v12 dst_sel:DWORD dst_unused:UNUSED_PAD src0_sel:WORD_1 src1_sel:DWORD
	v_cndmask_b32_e64 v8, 0, 1, vcc
	v_fma_f16 v11, v42, v15, -v11
	v_or_b32_e32 v8, v13, v8
	v_add_u32_e32 v13, 0xfffffc10, v10
	v_cvt_f32_f16_e32 v11, v11
	v_lshl_or_b32 v10, v13, 12, v3
	v_cmp_gt_i32_e32 vcc, 1, v13
	v_cndmask_b32_e32 v8, v10, v8, vcc
	v_and_b32_e32 v10, 7, v8
	v_cmp_lt_i32_e32 vcc, 5, v10
	v_cmp_eq_u32_e64 s[0:1], 3, v10
	v_cvt_f64_f32_e32 v[10:11], v11
	v_lshrrev_b32_e32 v8, 2, v8
	s_or_b64 vcc, s[0:1], vcc
	v_addc_co_u32_e32 v8, vcc, 0, v8, vcc
	v_mul_f64 v[10:11], v[10:11], s[2:3]
	v_cmp_gt_i32_e32 vcc, 31, v13
	v_cndmask_b32_e32 v8, v9, v8, vcc
	v_cmp_ne_u32_e32 vcc, 0, v3
	v_cndmask_b32_e64 v3, 0, 1, vcc
	v_lshl_or_b32 v3, v3, 9, v9
	v_cmp_eq_u32_e32 vcc, s10, v13
	v_cndmask_b32_e32 v3, v8, v3, vcc
	v_lshrrev_b32_e32 v4, 16, v4
	v_and_or_b32 v8, v4, s11, v3
	v_and_or_b32 v3, v11, s6, v10
	v_cmp_ne_u32_e32 vcc, 0, v3
	v_cndmask_b32_e64 v3, 0, 1, vcc
	v_lshrrev_b32_e32 v4, 8, v11
	v_bfe_u32 v10, v11, 20, 11
	v_and_or_b32 v3, v4, s7, v3
	v_sub_u32_e32 v12, 0x3f1, v10
	v_or_b32_e32 v4, 0x1000, v3
	v_med3_i32 v12, v12, 0, 13
	v_lshrrev_b32_e32 v13, v12, v4
	v_lshlrev_b32_e32 v12, v12, v13
	v_cmp_ne_u32_e32 vcc, v12, v4
	v_cndmask_b32_e64 v4, 0, 1, vcc
	v_add_u32_e32 v10, 0xfffffc10, v10
	v_or_b32_e32 v4, v13, v4
	v_lshl_or_b32 v12, v10, 12, v3
	v_cmp_gt_i32_e32 vcc, 1, v10
	v_cndmask_b32_e32 v4, v12, v4, vcc
	v_and_b32_e32 v12, 7, v4
	v_cmp_lt_i32_e32 vcc, 5, v12
	v_cmp_eq_u32_e64 s[0:1], 3, v12
	v_lshrrev_b32_e32 v4, 2, v4
	s_or_b64 vcc, s[0:1], vcc
	v_addc_co_u32_e32 v4, vcc, 0, v4, vcc
	v_cmp_gt_i32_e32 vcc, 31, v10
	v_lshrrev_b32_e32 v13, 16, v0
	v_cndmask_b32_e32 v12, v9, v4, vcc
	v_mul_f16_sdwa v4, v41, v13 dst_sel:DWORD dst_unused:UNUSED_PAD src0_sel:WORD_1 src1_sel:DWORD
	v_fma_f16 v4, v41, v0, v4
	v_cvt_f32_f16_e32 v4, v4
	v_cmp_ne_u32_e32 vcc, 0, v3
	v_cndmask_b32_e64 v3, 0, 1, vcc
	v_lshl_or_b32 v15, v3, 9, v9
	v_cvt_f64_f32_e32 v[3:4], v4
	v_cmp_eq_u32_e32 vcc, s10, v10
	v_cndmask_b32_e32 v10, v12, v15, vcc
	v_lshrrev_b32_e32 v11, 16, v11
	v_mul_f64 v[3:4], v[3:4], s[2:3]
	v_add_co_u32_e32 v6, vcc, s4, v6
	v_and_or_b32 v10, v11, s11, v10
	v_and_b32_e32 v8, 0xffff, v8
	v_addc_co_u32_e32 v7, vcc, v7, v5, vcc
	v_lshl_or_b32 v8, v10, 16, v8
	v_and_or_b32 v3, v4, s6, v3
	v_cmp_ne_u32_e32 vcc, 0, v3
	global_store_dword v[6:7], v8, off
	v_cndmask_b32_e64 v3, 0, 1, vcc
	v_lshrrev_b32_e32 v8, 8, v4
	v_bfe_u32 v10, v4, 20, 11
	v_and_or_b32 v3, v8, s7, v3
	v_sub_u32_e32 v11, 0x3f1, v10
	v_or_b32_e32 v8, 0x1000, v3
	v_med3_i32 v11, v11, 0, 13
	v_lshrrev_b32_e32 v12, v11, v8
	v_lshlrev_b32_e32 v11, v11, v12
	v_cmp_ne_u32_e32 vcc, v11, v8
	v_mul_f16_sdwa v0, v41, v0 dst_sel:DWORD dst_unused:UNUSED_PAD src0_sel:WORD_1 src1_sel:DWORD
	v_cndmask_b32_e64 v8, 0, 1, vcc
	v_fma_f16 v0, v41, v13, -v0
	v_or_b32_e32 v8, v12, v8
	v_add_u32_e32 v12, 0xfffffc10, v10
	v_cvt_f32_f16_e32 v0, v0
	v_lshl_or_b32 v10, v12, 12, v3
	v_cmp_gt_i32_e32 vcc, 1, v12
	v_cndmask_b32_e32 v8, v10, v8, vcc
	v_and_b32_e32 v10, 7, v8
	v_cmp_lt_i32_e32 vcc, 5, v10
	v_cmp_eq_u32_e64 s[0:1], 3, v10
	v_cvt_f64_f32_e32 v[10:11], v0
	v_lshrrev_b32_e32 v8, 2, v8
	s_or_b64 vcc, s[0:1], vcc
	v_addc_co_u32_e32 v0, vcc, 0, v8, vcc
	v_mul_f64 v[10:11], v[10:11], s[2:3]
	v_cmp_gt_i32_e32 vcc, 31, v12
	v_cndmask_b32_e32 v0, v9, v0, vcc
	v_cmp_ne_u32_e32 vcc, 0, v3
	v_cndmask_b32_e64 v3, 0, 1, vcc
	v_lshl_or_b32 v3, v3, 9, v9
	v_cmp_eq_u32_e32 vcc, s10, v12
	v_cndmask_b32_e32 v0, v0, v3, vcc
	v_lshrrev_b32_e32 v3, 16, v4
	v_and_or_b32 v0, v3, s11, v0
	v_and_or_b32 v3, v11, s6, v10
	v_cmp_ne_u32_e32 vcc, 0, v3
	v_cndmask_b32_e64 v3, 0, 1, vcc
	v_lshrrev_b32_e32 v4, 8, v11
	v_bfe_u32 v8, v11, 20, 11
	v_and_or_b32 v3, v4, s7, v3
	v_sub_u32_e32 v10, 0x3f1, v8
	v_or_b32_e32 v4, 0x1000, v3
	v_med3_i32 v10, v10, 0, 13
	v_lshrrev_b32_e32 v12, v10, v4
	v_lshlrev_b32_e32 v10, v10, v12
	v_cmp_ne_u32_e32 vcc, v10, v4
	v_cndmask_b32_e64 v4, 0, 1, vcc
	v_add_u32_e32 v8, 0xfffffc10, v8
	v_or_b32_e32 v4, v12, v4
	v_lshl_or_b32 v10, v8, 12, v3
	v_cmp_gt_i32_e32 vcc, 1, v8
	v_cndmask_b32_e32 v4, v10, v4, vcc
	v_and_b32_e32 v10, 7, v4
	v_cmp_lt_i32_e32 vcc, 5, v10
	v_cmp_eq_u32_e64 s[0:1], 3, v10
	v_lshrrev_b32_e32 v4, 2, v4
	s_or_b64 vcc, s[0:1], vcc
	v_addc_co_u32_e32 v4, vcc, 0, v4, vcc
	v_cmp_gt_i32_e32 vcc, 31, v8
	v_lshrrev_b32_e32 v12, 16, v1
	v_cndmask_b32_e32 v10, v9, v4, vcc
	v_mul_f16_sdwa v4, v39, v12 dst_sel:DWORD dst_unused:UNUSED_PAD src0_sel:WORD_1 src1_sel:DWORD
	v_fma_f16 v4, v39, v1, v4
	v_cvt_f32_f16_e32 v4, v4
	v_cmp_ne_u32_e32 vcc, 0, v3
	v_cndmask_b32_e64 v3, 0, 1, vcc
	v_lshl_or_b32 v13, v3, 9, v9
	v_cvt_f64_f32_e32 v[3:4], v4
	v_cmp_eq_u32_e32 vcc, s10, v8
	v_cndmask_b32_e32 v8, v10, v13, vcc
	v_lshrrev_b32_e32 v10, 16, v11
	v_mul_f64 v[3:4], v[3:4], s[2:3]
	v_and_or_b32 v8, v10, s11, v8
	v_and_b32_e32 v0, 0xffff, v0
	v_add_co_u32_e32 v6, vcc, s4, v6
	v_lshl_or_b32 v0, v8, 16, v0
	v_addc_co_u32_e32 v7, vcc, v7, v5, vcc
	global_store_dword v[6:7], v0, off
	v_and_or_b32 v0, v4, s6, v3
	v_cmp_ne_u32_e32 vcc, 0, v0
	v_cndmask_b32_e64 v0, 0, 1, vcc
	v_lshrrev_b32_e32 v3, 8, v4
	v_bfe_u32 v8, v4, 20, 11
	v_and_or_b32 v3, v3, s7, v0
	v_sub_u32_e32 v10, 0x3f1, v8
	v_or_b32_e32 v0, 0x1000, v3
	v_med3_i32 v10, v10, 0, 13
	v_lshrrev_b32_e32 v11, v10, v0
	v_lshlrev_b32_e32 v10, v10, v11
	v_mul_f16_sdwa v1, v39, v1 dst_sel:DWORD dst_unused:UNUSED_PAD src0_sel:WORD_1 src1_sel:DWORD
	v_cmp_ne_u32_e32 vcc, v10, v0
	v_fma_f16 v1, v39, v12, -v1
	v_cndmask_b32_e64 v0, 0, 1, vcc
	v_add_u32_e32 v8, 0xfffffc10, v8
	v_cvt_f32_f16_e32 v1, v1
	v_or_b32_e32 v0, v11, v0
	v_lshl_or_b32 v10, v8, 12, v3
	v_cmp_gt_i32_e32 vcc, 1, v8
	v_cndmask_b32_e32 v0, v10, v0, vcc
	v_and_b32_e32 v10, 7, v0
	v_cmp_lt_i32_e32 vcc, 5, v10
	v_cmp_eq_u32_e64 s[0:1], 3, v10
	v_lshrrev_b32_e32 v10, 2, v0
	v_cvt_f64_f32_e32 v[0:1], v1
	s_or_b64 vcc, s[0:1], vcc
	v_addc_co_u32_e32 v10, vcc, 0, v10, vcc
	v_mul_f64 v[0:1], v[0:1], s[2:3]
	v_cmp_gt_i32_e32 vcc, 31, v8
	v_cndmask_b32_e32 v10, v9, v10, vcc
	v_cmp_ne_u32_e32 vcc, 0, v3
	v_cndmask_b32_e64 v3, 0, 1, vcc
	v_lshl_or_b32 v3, v3, 9, v9
	v_cmp_eq_u32_e32 vcc, s10, v8
	v_cndmask_b32_e32 v3, v10, v3, vcc
	v_and_or_b32 v0, v1, s6, v0
	v_lshrrev_b32_e32 v4, 16, v4
	v_cmp_ne_u32_e32 vcc, 0, v0
	v_and_or_b32 v8, v4, s11, v3
	v_cndmask_b32_e64 v0, 0, 1, vcc
	v_lshrrev_b32_e32 v3, 8, v1
	v_bfe_u32 v4, v1, 20, 11
	v_and_or_b32 v0, v3, s7, v0
	v_sub_u32_e32 v10, 0x3f1, v4
	v_or_b32_e32 v3, 0x1000, v0
	v_med3_i32 v10, v10, 0, 13
	v_lshrrev_b32_e32 v11, v10, v3
	v_lshlrev_b32_e32 v10, v10, v11
	v_cmp_ne_u32_e32 vcc, v10, v3
	v_cndmask_b32_e64 v3, 0, 1, vcc
	v_add_u32_e32 v10, 0xfffffc10, v4
	v_or_b32_e32 v3, v11, v3
	v_lshl_or_b32 v4, v10, 12, v0
	v_cmp_gt_i32_e32 vcc, 1, v10
	v_cndmask_b32_e32 v3, v4, v3, vcc
	v_and_b32_e32 v4, 7, v3
	v_cmp_lt_i32_e32 vcc, 5, v4
	v_cmp_eq_u32_e64 s[0:1], 3, v4
	v_lshrrev_b32_e32 v3, 2, v3
	s_or_b64 vcc, s[0:1], vcc
	v_addc_co_u32_e32 v3, vcc, 0, v3, vcc
	v_cmp_gt_i32_e32 vcc, 31, v10
	v_lshrrev_b32_e32 v12, 16, v2
	v_cndmask_b32_e32 v11, v9, v3, vcc
	v_mul_f16_sdwa v3, v40, v12 dst_sel:DWORD dst_unused:UNUSED_PAD src0_sel:WORD_1 src1_sel:DWORD
	v_fma_f16 v3, v40, v2, v3
	v_cvt_f32_f16_e32 v3, v3
	v_cmp_ne_u32_e32 vcc, 0, v0
	v_cndmask_b32_e64 v0, 0, 1, vcc
	v_lshl_or_b32 v0, v0, 9, v9
	v_cvt_f64_f32_e32 v[3:4], v3
	v_cmp_eq_u32_e32 vcc, s10, v10
	v_cndmask_b32_e32 v0, v11, v0, vcc
	v_lshrrev_b32_e32 v1, 16, v1
	v_and_or_b32 v10, v1, s11, v0
	v_mul_f64 v[0:1], v[3:4], s[2:3]
	v_and_b32_e32 v3, 0xffff, v8
	v_lshl_or_b32 v8, v10, 16, v3
	v_add_co_u32_e32 v3, vcc, s4, v6
	v_addc_co_u32_e32 v4, vcc, v7, v5, vcc
	global_store_dword v[3:4], v8, off
	v_and_or_b32 v0, v1, s6, v0
	v_cmp_ne_u32_e32 vcc, 0, v0
	v_cndmask_b32_e64 v0, 0, 1, vcc
	v_lshrrev_b32_e32 v6, 8, v1
	v_bfe_u32 v7, v1, 20, 11
	v_and_or_b32 v0, v6, s7, v0
	v_sub_u32_e32 v8, 0x3f1, v7
	v_or_b32_e32 v6, 0x1000, v0
	v_med3_i32 v8, v8, 0, 13
	v_lshrrev_b32_e32 v10, v8, v6
	v_lshlrev_b32_e32 v8, v8, v10
	v_mul_f16_sdwa v2, v40, v2 dst_sel:DWORD dst_unused:UNUSED_PAD src0_sel:WORD_1 src1_sel:DWORD
	v_cmp_ne_u32_e32 vcc, v8, v6
	v_fma_f16 v2, v40, v12, -v2
	v_cndmask_b32_e64 v6, 0, 1, vcc
	v_add_u32_e32 v8, 0xfffffc10, v7
	v_cvt_f32_f16_e32 v2, v2
	v_or_b32_e32 v6, v10, v6
	v_lshl_or_b32 v7, v8, 12, v0
	v_cmp_gt_i32_e32 vcc, 1, v8
	v_cndmask_b32_e32 v6, v7, v6, vcc
	v_and_b32_e32 v7, 7, v6
	v_cmp_lt_i32_e32 vcc, 5, v7
	v_cmp_eq_u32_e64 s[0:1], 3, v7
	v_lshrrev_b32_e32 v10, 2, v6
	v_cvt_f64_f32_e32 v[6:7], v2
	s_or_b64 vcc, s[0:1], vcc
	v_addc_co_u32_e32 v2, vcc, 0, v10, vcc
	v_mul_f64 v[6:7], v[6:7], s[2:3]
	v_cmp_gt_i32_e32 vcc, 31, v8
	v_cndmask_b32_e32 v2, v9, v2, vcc
	v_cmp_ne_u32_e32 vcc, 0, v0
	v_cndmask_b32_e64 v0, 0, 1, vcc
	v_lshl_or_b32 v0, v0, 9, v9
	v_cmp_eq_u32_e32 vcc, s10, v8
	v_cndmask_b32_e32 v0, v2, v0, vcc
	v_lshrrev_b32_e32 v1, 16, v1
	v_and_or_b32 v2, v1, s11, v0
	v_and_or_b32 v0, v7, s6, v6
	v_cmp_ne_u32_e32 vcc, 0, v0
	v_cndmask_b32_e64 v0, 0, 1, vcc
	v_lshrrev_b32_e32 v1, 8, v7
	v_bfe_u32 v6, v7, 20, 11
	v_and_or_b32 v0, v1, s7, v0
	v_sub_u32_e32 v8, 0x3f1, v6
	v_or_b32_e32 v1, 0x1000, v0
	v_med3_i32 v8, v8, 0, 13
	v_lshrrev_b32_e32 v10, v8, v1
	v_lshlrev_b32_e32 v8, v8, v10
	v_cmp_ne_u32_e32 vcc, v8, v1
	v_cndmask_b32_e64 v1, 0, 1, vcc
	v_add_u32_e32 v6, 0xfffffc10, v6
	v_or_b32_e32 v1, v10, v1
	v_lshl_or_b32 v8, v6, 12, v0
	v_cmp_gt_i32_e32 vcc, 1, v6
	v_cndmask_b32_e32 v1, v8, v1, vcc
	v_and_b32_e32 v8, 7, v1
	v_cmp_lt_i32_e32 vcc, 5, v8
	v_cmp_eq_u32_e64 s[0:1], 3, v8
	v_lshrrev_b32_e32 v1, 2, v1
	s_or_b64 vcc, s[0:1], vcc
	v_addc_co_u32_e32 v1, vcc, 0, v1, vcc
	v_cmp_gt_i32_e32 vcc, 31, v6
	s_waitcnt lgkmcnt(0)
	v_lshrrev_b32_e32 v10, 16, v14
	v_cndmask_b32_e32 v8, v9, v1, vcc
	v_mul_f16_sdwa v1, v37, v10 dst_sel:DWORD dst_unused:UNUSED_PAD src0_sel:WORD_1 src1_sel:DWORD
	v_fma_f16 v1, v37, v14, v1
	v_cvt_f32_f16_e32 v1, v1
	v_cmp_ne_u32_e32 vcc, 0, v0
	v_cndmask_b32_e64 v0, 0, 1, vcc
	v_lshl_or_b32 v11, v0, 9, v9
	v_cvt_f64_f32_e32 v[0:1], v1
	v_cmp_eq_u32_e32 vcc, s10, v6
	v_cndmask_b32_e32 v6, v8, v11, vcc
	v_lshrrev_b32_e32 v7, 16, v7
	v_mul_f64 v[0:1], v[0:1], s[2:3]
	v_and_or_b32 v6, v7, s11, v6
	v_and_b32_e32 v2, 0xffff, v2
	v_lshl_or_b32 v6, v6, 16, v2
	v_add_co_u32_e32 v2, vcc, s4, v3
	v_addc_co_u32_e32 v3, vcc, v4, v5, vcc
	v_and_or_b32 v0, v1, s6, v0
	v_cmp_ne_u32_e32 vcc, 0, v0
	global_store_dword v[2:3], v6, off
	v_cndmask_b32_e64 v0, 0, 1, vcc
	v_lshrrev_b32_e32 v4, 8, v1
	v_bfe_u32 v6, v1, 20, 11
	v_and_or_b32 v0, v4, s7, v0
	v_sub_u32_e32 v7, 0x3f1, v6
	v_or_b32_e32 v4, 0x1000, v0
	v_med3_i32 v7, v7, 0, 13
	v_lshrrev_b32_e32 v8, v7, v4
	v_lshlrev_b32_e32 v7, v7, v8
	v_cmp_ne_u32_e32 vcc, v7, v4
	v_mul_f16_sdwa v7, v37, v14 dst_sel:DWORD dst_unused:UNUSED_PAD src0_sel:WORD_1 src1_sel:DWORD
	v_cndmask_b32_e64 v4, 0, 1, vcc
	v_fma_f16 v7, v37, v10, -v7
	v_or_b32_e32 v4, v8, v4
	v_add_u32_e32 v8, 0xfffffc10, v6
	v_cvt_f32_f16_e32 v7, v7
	v_lshl_or_b32 v6, v8, 12, v0
	v_cmp_gt_i32_e32 vcc, 1, v8
	v_cndmask_b32_e32 v4, v6, v4, vcc
	v_and_b32_e32 v6, 7, v4
	v_cmp_lt_i32_e32 vcc, 5, v6
	v_cmp_eq_u32_e64 s[0:1], 3, v6
	v_cvt_f64_f32_e32 v[6:7], v7
	v_lshrrev_b32_e32 v4, 2, v4
	s_or_b64 vcc, s[0:1], vcc
	v_addc_co_u32_e32 v4, vcc, 0, v4, vcc
	v_mul_f64 v[6:7], v[6:7], s[2:3]
	v_cmp_gt_i32_e32 vcc, 31, v8
	v_cndmask_b32_e32 v4, v9, v4, vcc
	v_cmp_ne_u32_e32 vcc, 0, v0
	v_cndmask_b32_e64 v0, 0, 1, vcc
	v_lshl_or_b32 v0, v0, 9, v9
	v_cmp_eq_u32_e32 vcc, s10, v8
	v_cndmask_b32_e32 v0, v4, v0, vcc
	v_lshrrev_b32_e32 v1, 16, v1
	v_and_or_b32 v0, v1, s11, v0
	v_and_or_b32 v1, v7, s6, v6
	v_cmp_ne_u32_e32 vcc, 0, v1
	v_cndmask_b32_e64 v1, 0, 1, vcc
	v_lshrrev_b32_e32 v4, 8, v7
	v_bfe_u32 v6, v7, 20, 11
	v_and_or_b32 v1, v4, s7, v1
	v_sub_u32_e32 v8, 0x3f1, v6
	v_or_b32_e32 v4, 0x1000, v1
	v_med3_i32 v8, v8, 0, 13
	v_lshrrev_b32_e32 v10, v8, v4
	v_lshlrev_b32_e32 v8, v8, v10
	v_cmp_ne_u32_e32 vcc, v8, v4
	v_cndmask_b32_e64 v4, 0, 1, vcc
	v_add_u32_e32 v6, 0xfffffc10, v6
	v_or_b32_e32 v4, v10, v4
	v_lshl_or_b32 v8, v6, 12, v1
	v_cmp_gt_i32_e32 vcc, 1, v6
	v_cndmask_b32_e32 v4, v8, v4, vcc
	v_and_b32_e32 v8, 7, v4
	v_cmp_lt_i32_e32 vcc, 5, v8
	v_cmp_eq_u32_e64 s[0:1], 3, v8
	v_lshrrev_b32_e32 v4, 2, v4
	s_or_b64 vcc, s[0:1], vcc
	v_addc_co_u32_e32 v4, vcc, 0, v4, vcc
	v_cmp_gt_i32_e32 vcc, 31, v6
	v_cndmask_b32_e32 v4, v9, v4, vcc
	v_cmp_ne_u32_e32 vcc, 0, v1
	v_cndmask_b32_e64 v1, 0, 1, vcc
	v_lshl_or_b32 v1, v1, 9, v9
	v_cmp_eq_u32_e32 vcc, s10, v6
	v_cndmask_b32_e32 v1, v4, v1, vcc
	v_lshrrev_b32_e32 v4, 16, v7
	v_and_or_b32 v1, v4, s11, v1
	v_and_b32_e32 v0, 0xffff, v0
	v_lshl_or_b32 v4, v1, 16, v0
	v_add_co_u32_e32 v0, vcc, s4, v2
	v_addc_co_u32_e32 v1, vcc, v3, v5, vcc
	global_store_dword v[0:1], v4, off
.LBB0_2:
	s_endpgm
	.section	.rodata,"a",@progbits
	.p2align	6, 0x0
	.amdhsa_kernel bluestein_single_back_len320_dim1_half_op_CI_CI
		.amdhsa_group_segment_fixed_size 5120
		.amdhsa_private_segment_fixed_size 0
		.amdhsa_kernarg_size 104
		.amdhsa_user_sgpr_count 6
		.amdhsa_user_sgpr_private_segment_buffer 1
		.amdhsa_user_sgpr_dispatch_ptr 0
		.amdhsa_user_sgpr_queue_ptr 0
		.amdhsa_user_sgpr_kernarg_segment_ptr 1
		.amdhsa_user_sgpr_dispatch_id 0
		.amdhsa_user_sgpr_flat_scratch_init 0
		.amdhsa_user_sgpr_private_segment_size 0
		.amdhsa_uses_dynamic_stack 0
		.amdhsa_system_sgpr_private_segment_wavefront_offset 0
		.amdhsa_system_sgpr_workgroup_id_x 1
		.amdhsa_system_sgpr_workgroup_id_y 0
		.amdhsa_system_sgpr_workgroup_id_z 0
		.amdhsa_system_sgpr_workgroup_info 0
		.amdhsa_system_vgpr_workitem_id 0
		.amdhsa_next_free_vgpr 123
		.amdhsa_next_free_sgpr 20
		.amdhsa_reserve_vcc 1
		.amdhsa_reserve_flat_scratch 0
		.amdhsa_float_round_mode_32 0
		.amdhsa_float_round_mode_16_64 0
		.amdhsa_float_denorm_mode_32 3
		.amdhsa_float_denorm_mode_16_64 3
		.amdhsa_dx10_clamp 1
		.amdhsa_ieee_mode 1
		.amdhsa_fp16_overflow 0
		.amdhsa_exception_fp_ieee_invalid_op 0
		.amdhsa_exception_fp_denorm_src 0
		.amdhsa_exception_fp_ieee_div_zero 0
		.amdhsa_exception_fp_ieee_overflow 0
		.amdhsa_exception_fp_ieee_underflow 0
		.amdhsa_exception_fp_ieee_inexact 0
		.amdhsa_exception_int_div_zero 0
	.end_amdhsa_kernel
	.text
.Lfunc_end0:
	.size	bluestein_single_back_len320_dim1_half_op_CI_CI, .Lfunc_end0-bluestein_single_back_len320_dim1_half_op_CI_CI
                                        ; -- End function
	.section	.AMDGPU.csdata,"",@progbits
; Kernel info:
; codeLenInByte = 25900
; NumSgprs: 24
; NumVgprs: 123
; ScratchSize: 0
; MemoryBound: 0
; FloatMode: 240
; IeeeMode: 1
; LDSByteSize: 5120 bytes/workgroup (compile time only)
; SGPRBlocks: 2
; VGPRBlocks: 30
; NumSGPRsForWavesPerEU: 24
; NumVGPRsForWavesPerEU: 123
; Occupancy: 2
; WaveLimiterHint : 1
; COMPUTE_PGM_RSRC2:SCRATCH_EN: 0
; COMPUTE_PGM_RSRC2:USER_SGPR: 6
; COMPUTE_PGM_RSRC2:TRAP_HANDLER: 0
; COMPUTE_PGM_RSRC2:TGID_X_EN: 1
; COMPUTE_PGM_RSRC2:TGID_Y_EN: 0
; COMPUTE_PGM_RSRC2:TGID_Z_EN: 0
; COMPUTE_PGM_RSRC2:TIDIG_COMP_CNT: 0
	.type	__hip_cuid_e1b4d25f467adc56,@object ; @__hip_cuid_e1b4d25f467adc56
	.section	.bss,"aw",@nobits
	.globl	__hip_cuid_e1b4d25f467adc56
__hip_cuid_e1b4d25f467adc56:
	.byte	0                               ; 0x0
	.size	__hip_cuid_e1b4d25f467adc56, 1

	.ident	"AMD clang version 19.0.0git (https://github.com/RadeonOpenCompute/llvm-project roc-6.4.0 25133 c7fe45cf4b819c5991fe208aaa96edf142730f1d)"
	.section	".note.GNU-stack","",@progbits
	.addrsig
	.addrsig_sym __hip_cuid_e1b4d25f467adc56
	.amdgpu_metadata
---
amdhsa.kernels:
  - .args:
      - .actual_access:  read_only
        .address_space:  global
        .offset:         0
        .size:           8
        .value_kind:     global_buffer
      - .actual_access:  read_only
        .address_space:  global
        .offset:         8
        .size:           8
        .value_kind:     global_buffer
      - .actual_access:  read_only
        .address_space:  global
        .offset:         16
        .size:           8
        .value_kind:     global_buffer
      - .actual_access:  read_only
        .address_space:  global
        .offset:         24
        .size:           8
        .value_kind:     global_buffer
      - .actual_access:  read_only
        .address_space:  global
        .offset:         32
        .size:           8
        .value_kind:     global_buffer
      - .offset:         40
        .size:           8
        .value_kind:     by_value
      - .address_space:  global
        .offset:         48
        .size:           8
        .value_kind:     global_buffer
      - .address_space:  global
        .offset:         56
        .size:           8
        .value_kind:     global_buffer
      - .address_space:  global
        .offset:         64
        .size:           8
        .value_kind:     global_buffer
      - .address_space:  global
        .offset:         72
        .size:           8
        .value_kind:     global_buffer
      - .offset:         80
        .size:           4
        .value_kind:     by_value
      - .address_space:  global
        .offset:         88
        .size:           8
        .value_kind:     global_buffer
      - .address_space:  global
        .offset:         96
        .size:           8
        .value_kind:     global_buffer
    .group_segment_fixed_size: 5120
    .kernarg_segment_align: 8
    .kernarg_segment_size: 104
    .language:       OpenCL C
    .language_version:
      - 2
      - 0
    .max_flat_workgroup_size: 64
    .name:           bluestein_single_back_len320_dim1_half_op_CI_CI
    .private_segment_fixed_size: 0
    .sgpr_count:     24
    .sgpr_spill_count: 0
    .symbol:         bluestein_single_back_len320_dim1_half_op_CI_CI.kd
    .uniform_work_group_size: 1
    .uses_dynamic_stack: false
    .vgpr_count:     123
    .vgpr_spill_count: 0
    .wavefront_size: 64
amdhsa.target:   amdgcn-amd-amdhsa--gfx906
amdhsa.version:
  - 1
  - 2
...

	.end_amdgpu_metadata
